;; amdgpu-corpus repo=ROCm/rocFFT kind=compiled arch=gfx906 opt=O3
	.text
	.amdgcn_target "amdgcn-amd-amdhsa--gfx906"
	.amdhsa_code_object_version 6
	.protected	fft_rtc_back_len1680_factors_2_2_2_2_3_7_5_wgs_112_tpt_112_halfLds_half_op_CI_CI_unitstride_sbrr_C2R_dirReg ; -- Begin function fft_rtc_back_len1680_factors_2_2_2_2_3_7_5_wgs_112_tpt_112_halfLds_half_op_CI_CI_unitstride_sbrr_C2R_dirReg
	.globl	fft_rtc_back_len1680_factors_2_2_2_2_3_7_5_wgs_112_tpt_112_halfLds_half_op_CI_CI_unitstride_sbrr_C2R_dirReg
	.p2align	8
	.type	fft_rtc_back_len1680_factors_2_2_2_2_3_7_5_wgs_112_tpt_112_halfLds_half_op_CI_CI_unitstride_sbrr_C2R_dirReg,@function
fft_rtc_back_len1680_factors_2_2_2_2_3_7_5_wgs_112_tpt_112_halfLds_half_op_CI_CI_unitstride_sbrr_C2R_dirReg: ; @fft_rtc_back_len1680_factors_2_2_2_2_3_7_5_wgs_112_tpt_112_halfLds_half_op_CI_CI_unitstride_sbrr_C2R_dirReg
; %bb.0:
	s_load_dwordx4 s[8:11], s[4:5], 0x58
	s_load_dwordx4 s[12:15], s[4:5], 0x0
	;; [unrolled: 1-line block ×3, first 2 shown]
	v_mul_u32_u24_e32 v1, 0x24a, v0
	v_mov_b32_e32 v3, 0
	v_mov_b32_e32 v7, 0
	s_waitcnt lgkmcnt(0)
	v_cmp_lt_u64_e64 s[0:1], s[14:15], 2
	v_add_u32_sdwa v9, s6, v1 dst_sel:DWORD dst_unused:UNUSED_PAD src0_sel:DWORD src1_sel:WORD_1
	v_mov_b32_e32 v10, v3
	s_and_b64 vcc, exec, s[0:1]
	v_mov_b32_e32 v8, 0
	s_cbranch_vccnz .LBB0_8
; %bb.1:
	s_load_dwordx2 s[0:1], s[4:5], 0x10
	s_add_u32 s2, s18, 8
	s_addc_u32 s3, s19, 0
	s_add_u32 s6, s16, 8
	s_addc_u32 s7, s17, 0
	v_mov_b32_e32 v7, 0
	s_waitcnt lgkmcnt(0)
	s_add_u32 s20, s0, 8
	v_mov_b32_e32 v8, 0
	v_mov_b32_e32 v1, v7
	s_addc_u32 s21, s1, 0
	s_mov_b64 s[22:23], 1
	v_mov_b32_e32 v2, v8
.LBB0_2:                                ; =>This Inner Loop Header: Depth=1
	s_load_dwordx2 s[24:25], s[20:21], 0x0
                                        ; implicit-def: $vgpr5_vgpr6
	s_waitcnt lgkmcnt(0)
	v_or_b32_e32 v4, s25, v10
	v_cmp_ne_u64_e32 vcc, 0, v[3:4]
	s_and_saveexec_b64 s[0:1], vcc
	s_xor_b64 s[26:27], exec, s[0:1]
	s_cbranch_execz .LBB0_4
; %bb.3:                                ;   in Loop: Header=BB0_2 Depth=1
	v_cvt_f32_u32_e32 v4, s24
	v_cvt_f32_u32_e32 v5, s25
	s_sub_u32 s0, 0, s24
	s_subb_u32 s1, 0, s25
	v_mac_f32_e32 v4, 0x4f800000, v5
	v_rcp_f32_e32 v4, v4
	v_mul_f32_e32 v4, 0x5f7ffffc, v4
	v_mul_f32_e32 v5, 0x2f800000, v4
	v_trunc_f32_e32 v5, v5
	v_mac_f32_e32 v4, 0xcf800000, v5
	v_cvt_u32_f32_e32 v5, v5
	v_cvt_u32_f32_e32 v4, v4
	v_mul_lo_u32 v6, s0, v5
	v_mul_hi_u32 v11, s0, v4
	v_mul_lo_u32 v13, s1, v4
	v_mul_lo_u32 v12, s0, v4
	v_add_u32_e32 v6, v11, v6
	v_add_u32_e32 v6, v6, v13
	v_mul_hi_u32 v11, v4, v12
	v_mul_lo_u32 v13, v4, v6
	v_mul_hi_u32 v15, v4, v6
	v_mul_hi_u32 v14, v5, v12
	v_mul_lo_u32 v12, v5, v12
	v_mul_hi_u32 v16, v5, v6
	v_add_co_u32_e32 v11, vcc, v11, v13
	v_addc_co_u32_e32 v13, vcc, 0, v15, vcc
	v_mul_lo_u32 v6, v5, v6
	v_add_co_u32_e32 v11, vcc, v11, v12
	v_addc_co_u32_e32 v11, vcc, v13, v14, vcc
	v_addc_co_u32_e32 v12, vcc, 0, v16, vcc
	v_add_co_u32_e32 v6, vcc, v11, v6
	v_addc_co_u32_e32 v11, vcc, 0, v12, vcc
	v_add_co_u32_e32 v4, vcc, v4, v6
	v_addc_co_u32_e32 v5, vcc, v5, v11, vcc
	v_mul_lo_u32 v6, s0, v5
	v_mul_hi_u32 v11, s0, v4
	v_mul_lo_u32 v12, s1, v4
	v_mul_lo_u32 v13, s0, v4
	v_add_u32_e32 v6, v11, v6
	v_add_u32_e32 v6, v6, v12
	v_mul_lo_u32 v14, v4, v6
	v_mul_hi_u32 v15, v4, v13
	v_mul_hi_u32 v16, v4, v6
	v_mul_hi_u32 v12, v5, v13
	v_mul_lo_u32 v13, v5, v13
	v_mul_hi_u32 v11, v5, v6
	v_add_co_u32_e32 v14, vcc, v15, v14
	v_addc_co_u32_e32 v15, vcc, 0, v16, vcc
	v_mul_lo_u32 v6, v5, v6
	v_add_co_u32_e32 v13, vcc, v14, v13
	v_addc_co_u32_e32 v12, vcc, v15, v12, vcc
	v_addc_co_u32_e32 v11, vcc, 0, v11, vcc
	v_add_co_u32_e32 v6, vcc, v12, v6
	v_addc_co_u32_e32 v11, vcc, 0, v11, vcc
	v_add_co_u32_e32 v6, vcc, v4, v6
	v_addc_co_u32_e32 v11, vcc, v5, v11, vcc
	v_mad_u64_u32 v[4:5], s[0:1], v9, v11, 0
	v_mul_hi_u32 v12, v9, v6
	v_add_co_u32_e32 v13, vcc, v12, v4
	v_addc_co_u32_e32 v14, vcc, 0, v5, vcc
	v_mad_u64_u32 v[4:5], s[0:1], v10, v6, 0
	v_mad_u64_u32 v[11:12], s[0:1], v10, v11, 0
	v_add_co_u32_e32 v4, vcc, v13, v4
	v_addc_co_u32_e32 v4, vcc, v14, v5, vcc
	v_addc_co_u32_e32 v5, vcc, 0, v12, vcc
	v_add_co_u32_e32 v11, vcc, v4, v11
	v_addc_co_u32_e32 v6, vcc, 0, v5, vcc
	v_mul_lo_u32 v12, s25, v11
	v_mul_lo_u32 v13, s24, v6
	v_mad_u64_u32 v[4:5], s[0:1], s24, v11, 0
	v_add3_u32 v5, v5, v13, v12
	v_sub_u32_e32 v12, v10, v5
	v_mov_b32_e32 v13, s25
	v_sub_co_u32_e32 v4, vcc, v9, v4
	v_subb_co_u32_e64 v12, s[0:1], v12, v13, vcc
	v_subrev_co_u32_e64 v13, s[0:1], s24, v4
	v_subbrev_co_u32_e64 v12, s[0:1], 0, v12, s[0:1]
	v_cmp_le_u32_e64 s[0:1], s25, v12
	v_cndmask_b32_e64 v14, 0, -1, s[0:1]
	v_cmp_le_u32_e64 s[0:1], s24, v13
	v_cndmask_b32_e64 v13, 0, -1, s[0:1]
	v_cmp_eq_u32_e64 s[0:1], s25, v12
	v_cndmask_b32_e64 v12, v14, v13, s[0:1]
	v_add_co_u32_e64 v13, s[0:1], 2, v11
	v_addc_co_u32_e64 v14, s[0:1], 0, v6, s[0:1]
	v_add_co_u32_e64 v15, s[0:1], 1, v11
	v_addc_co_u32_e64 v16, s[0:1], 0, v6, s[0:1]
	v_subb_co_u32_e32 v5, vcc, v10, v5, vcc
	v_cmp_ne_u32_e64 s[0:1], 0, v12
	v_cmp_le_u32_e32 vcc, s25, v5
	v_cndmask_b32_e64 v12, v16, v14, s[0:1]
	v_cndmask_b32_e64 v14, 0, -1, vcc
	v_cmp_le_u32_e32 vcc, s24, v4
	v_cndmask_b32_e64 v4, 0, -1, vcc
	v_cmp_eq_u32_e32 vcc, s25, v5
	v_cndmask_b32_e32 v4, v14, v4, vcc
	v_cmp_ne_u32_e32 vcc, 0, v4
	v_cndmask_b32_e64 v4, v15, v13, s[0:1]
	v_cndmask_b32_e32 v6, v6, v12, vcc
	v_cndmask_b32_e32 v5, v11, v4, vcc
.LBB0_4:                                ;   in Loop: Header=BB0_2 Depth=1
	s_andn2_saveexec_b64 s[0:1], s[26:27]
	s_cbranch_execz .LBB0_6
; %bb.5:                                ;   in Loop: Header=BB0_2 Depth=1
	v_cvt_f32_u32_e32 v4, s24
	s_sub_i32 s26, 0, s24
	v_rcp_iflag_f32_e32 v4, v4
	v_mul_f32_e32 v4, 0x4f7ffffe, v4
	v_cvt_u32_f32_e32 v4, v4
	v_mul_lo_u32 v5, s26, v4
	v_mul_hi_u32 v5, v4, v5
	v_add_u32_e32 v4, v4, v5
	v_mul_hi_u32 v4, v9, v4
	v_mul_lo_u32 v5, v4, s24
	v_add_u32_e32 v6, 1, v4
	v_sub_u32_e32 v5, v9, v5
	v_subrev_u32_e32 v11, s24, v5
	v_cmp_le_u32_e32 vcc, s24, v5
	v_cndmask_b32_e32 v5, v5, v11, vcc
	v_cndmask_b32_e32 v4, v4, v6, vcc
	v_add_u32_e32 v6, 1, v4
	v_cmp_le_u32_e32 vcc, s24, v5
	v_cndmask_b32_e32 v5, v4, v6, vcc
	v_mov_b32_e32 v6, v3
.LBB0_6:                                ;   in Loop: Header=BB0_2 Depth=1
	s_or_b64 exec, exec, s[0:1]
	v_mul_lo_u32 v4, v6, s24
	v_mul_lo_u32 v13, v5, s25
	v_mad_u64_u32 v[11:12], s[0:1], v5, s24, 0
	s_load_dwordx2 s[0:1], s[6:7], 0x0
	s_load_dwordx2 s[24:25], s[2:3], 0x0
	v_add3_u32 v4, v12, v13, v4
	v_sub_co_u32_e32 v9, vcc, v9, v11
	v_subb_co_u32_e32 v4, vcc, v10, v4, vcc
	s_waitcnt lgkmcnt(0)
	v_mul_lo_u32 v10, s0, v4
	v_mul_lo_u32 v11, s1, v9
	v_mad_u64_u32 v[7:8], s[0:1], s0, v9, v[7:8]
	s_add_u32 s22, s22, 1
	s_addc_u32 s23, s23, 0
	s_add_u32 s2, s2, 8
	v_mul_lo_u32 v4, s24, v4
	v_mul_lo_u32 v12, s25, v9
	v_mad_u64_u32 v[1:2], s[0:1], s24, v9, v[1:2]
	v_add3_u32 v8, v11, v8, v10
	s_addc_u32 s3, s3, 0
	v_mov_b32_e32 v9, s14
	s_add_u32 s6, s6, 8
	v_mov_b32_e32 v10, s15
	s_addc_u32 s7, s7, 0
	v_cmp_ge_u64_e32 vcc, s[22:23], v[9:10]
	s_add_u32 s20, s20, 8
	v_add3_u32 v2, v12, v2, v4
	s_addc_u32 s21, s21, 0
	s_cbranch_vccnz .LBB0_9
; %bb.7:                                ;   in Loop: Header=BB0_2 Depth=1
	v_mov_b32_e32 v10, v6
	v_mov_b32_e32 v9, v5
	s_branch .LBB0_2
.LBB0_8:
	v_mov_b32_e32 v1, v7
	v_mov_b32_e32 v5, v9
	;; [unrolled: 1-line block ×4, first 2 shown]
.LBB0_9:
	s_load_dwordx2 s[4:5], s[4:5], 0x28
	s_lshl_b64 s[6:7], s[14:15], 3
	s_add_u32 s2, s18, s6
	s_addc_u32 s3, s19, s7
                                        ; implicit-def: $vgpr3
	s_waitcnt lgkmcnt(0)
	v_cmp_gt_u64_e64 s[0:1], s[4:5], v[5:6]
	v_cmp_le_u64_e32 vcc, s[4:5], v[5:6]
	s_and_saveexec_b64 s[4:5], vcc
	s_xor_b64 s[4:5], exec, s[4:5]
; %bb.10:
	s_mov_b32 s14, 0x2492493
	v_mul_hi_u32 v3, v0, s14
                                        ; implicit-def: $vgpr7_vgpr8
	v_mul_u32_u24_e32 v3, 0x70, v3
	v_sub_u32_e32 v3, v0, v3
                                        ; implicit-def: $vgpr0
; %bb.11:
	s_or_saveexec_b64 s[4:5], s[4:5]
	s_load_dwordx2 s[2:3], s[2:3], 0x0
	s_xor_b64 exec, exec, s[4:5]
	s_cbranch_execz .LBB0_15
; %bb.12:
	s_add_u32 s6, s16, s6
	s_addc_u32 s7, s17, s7
	s_load_dwordx2 s[6:7], s[6:7], 0x0
	s_mov_b32 s14, 0x2492493
	v_mul_hi_u32 v3, v0, s14
	v_lshlrev_b64 v[7:8], 2, v[7:8]
	s_waitcnt lgkmcnt(0)
	v_mul_lo_u32 v4, s7, v5
	v_mul_lo_u32 v11, s6, v6
	v_mad_u64_u32 v[9:10], s[6:7], s6, v5, 0
	v_mul_u32_u24_e32 v3, 0x70, v3
	v_sub_u32_e32 v3, v0, v3
	v_add3_u32 v10, v10, v11, v4
	v_lshlrev_b64 v[9:10], 2, v[9:10]
	v_mov_b32_e32 v0, s9
	v_add_co_u32_e32 v4, vcc, s8, v9
	v_addc_co_u32_e32 v0, vcc, v0, v10, vcc
	v_add_co_u32_e32 v4, vcc, v4, v7
	v_addc_co_u32_e32 v0, vcc, v0, v8, vcc
	v_lshlrev_b32_e32 v11, 2, v3
	v_add_co_u32_e32 v7, vcc, v4, v11
	v_addc_co_u32_e32 v8, vcc, 0, v0, vcc
	s_movk_i32 s6, 0x1000
	v_add_co_u32_e32 v9, vcc, s6, v7
	global_load_dword v12, v[7:8], off
	global_load_dword v13, v[7:8], off offset:448
	global_load_dword v14, v[7:8], off offset:896
	;; [unrolled: 1-line block ×7, first 2 shown]
	v_addc_co_u32_e32 v10, vcc, 0, v8, vcc
	global_load_dword v20, v[7:8], off offset:3584
	global_load_dword v21, v[7:8], off offset:4032
	global_load_dword v22, v[9:10], off offset:384
	global_load_dword v23, v[9:10], off offset:832
	global_load_dword v24, v[9:10], off offset:1280
	global_load_dword v25, v[9:10], off offset:1728
	global_load_dword v26, v[9:10], off offset:2176
	s_movk_i32 s6, 0x6f
	v_add_u32_e32 v7, 0, v11
	v_cmp_eq_u32_e32 vcc, s6, v3
	v_add_u32_e32 v8, 0x200, v7
	v_add_u32_e32 v9, 0x600, v7
	;; [unrolled: 1-line block ×6, first 2 shown]
	s_waitcnt vmcnt(13)
	ds_write2_b32 v7, v12, v13 offset1:112
	s_waitcnt vmcnt(11)
	ds_write2_b32 v8, v14, v15 offset0:96 offset1:208
	s_waitcnt vmcnt(9)
	ds_write2_b32 v9, v16, v17 offset0:64 offset1:176
	;; [unrolled: 2-line block ×6, first 2 shown]
	s_waitcnt vmcnt(0)
	ds_write_b32 v7, v26 offset:6272
	s_and_saveexec_b64 s[6:7], vcc
	s_cbranch_execz .LBB0_14
; %bb.13:
	v_add_co_u32_e32 v3, vcc, 0x1000, v4
	v_addc_co_u32_e32 v4, vcc, 0, v0, vcc
	global_load_dword v0, v[3:4], off offset:2624
	v_mov_b32_e32 v3, 0
	s_waitcnt vmcnt(0)
	ds_write_b32 v3, v0 offset:6720
	v_mov_b32_e32 v3, 0x6f
.LBB0_14:
	s_or_b64 exec, exec, s[6:7]
.LBB0_15:
	s_or_b64 exec, exec, s[4:5]
	v_lshlrev_b32_e32 v7, 2, v3
	v_add_u32_e32 v0, 0, v7
	s_waitcnt lgkmcnt(0)
	s_barrier
	v_sub_u32_e32 v10, 0, v7
	ds_read_u16 v13, v0
	ds_read_u16 v14, v10 offset:6720
	s_add_u32 s6, s12, 0x1a38
	s_addc_u32 s7, s13, 0
	v_cmp_ne_u32_e32 vcc, 0, v3
                                        ; implicit-def: $vgpr8_vgpr9
	s_waitcnt lgkmcnt(0)
	v_add_f16_e32 v11, v14, v13
	v_sub_f16_e32 v12, v13, v14
	s_and_saveexec_b64 s[4:5], vcc
	s_xor_b64 s[4:5], exec, s[4:5]
	s_cbranch_execz .LBB0_17
; %bb.16:
	v_mov_b32_e32 v4, 0
	v_lshlrev_b64 v[8:9], 2, v[3:4]
	v_mov_b32_e32 v11, s7
	v_add_co_u32_e32 v8, vcc, s6, v8
	v_addc_co_u32_e32 v9, vcc, v11, v9, vcc
	global_load_dword v8, v[8:9], off
	ds_read_u16 v9, v10 offset:6722
	ds_read_u16 v11, v0 offset:2
	v_add_f16_e32 v12, v14, v13
	v_sub_f16_e32 v13, v13, v14
	s_waitcnt lgkmcnt(0)
	v_add_f16_e32 v14, v9, v11
	v_sub_f16_e32 v9, v11, v9
	s_waitcnt vmcnt(0)
	v_lshrrev_b32_e32 v11, 16, v8
	v_fma_f16 v15, v13, v11, v12
	v_fma_f16 v16, v14, v11, v9
	v_fma_f16 v17, -v13, v11, v12
	v_fma_f16 v9, v14, v11, -v9
	v_fma_f16 v11, -v8, v14, v15
	v_fma_f16 v12, v13, v8, v16
	v_fma_f16 v14, v8, v14, v17
	;; [unrolled: 1-line block ×3, first 2 shown]
	v_pack_b32_f16 v8, v14, v8
	ds_write_b32 v10, v8 offset:6720
	v_mov_b32_e32 v9, v4
	v_mov_b32_e32 v8, v3
.LBB0_17:
	s_andn2_saveexec_b64 s[4:5], s[4:5]
	s_cbranch_execz .LBB0_19
; %bb.18:
	v_mov_b32_e32 v4, 0
	ds_read_b32 v8, v4 offset:3360
	s_mov_b32 s8, 0xc0004000
	s_waitcnt lgkmcnt(0)
	v_pk_mul_f16 v13, v8, s8
	v_mov_b32_e32 v8, 0
	v_mov_b32_e32 v9, 0
	ds_write_b32 v4, v13 offset:3360
.LBB0_19:
	s_or_b64 exec, exec, s[4:5]
	v_lshlrev_b64 v[8:9], 2, v[8:9]
	v_mov_b32_e32 v4, s7
	v_add_co_u32_e32 v8, vcc, s6, v8
	v_addc_co_u32_e32 v9, vcc, v4, v9, vcc
	global_load_dword v4, v[8:9], off offset:448
	global_load_dword v13, v[8:9], off offset:896
	;; [unrolled: 1-line block ×4, first 2 shown]
	s_mov_b32 s4, 0x5040100
	v_perm_b32 v11, v12, v11, s4
	ds_write_b32 v0, v11
	ds_read_b32 v11, v0 offset:448
	ds_read_b32 v12, v10 offset:6272
	global_load_dword v16, v[8:9], off offset:2240
	global_load_dword v17, v[8:9], off offset:2688
	v_cmp_gt_u32_e32 vcc, 56, v3
	s_waitcnt lgkmcnt(0)
	v_add_f16_e32 v18, v11, v12
	v_add_f16_sdwa v19, v12, v11 dst_sel:DWORD dst_unused:UNUSED_PAD src0_sel:WORD_1 src1_sel:WORD_1
	v_sub_f16_e32 v20, v11, v12
	v_sub_f16_sdwa v11, v11, v12 dst_sel:DWORD dst_unused:UNUSED_PAD src0_sel:WORD_1 src1_sel:WORD_1
	s_waitcnt vmcnt(5)
	v_lshrrev_b32_e32 v12, 16, v4
	v_fma_f16 v21, v20, v12, v18
	v_fma_f16 v22, v19, v12, v11
	v_fma_f16 v18, -v20, v12, v18
	v_fma_f16 v11, v19, v12, -v11
	v_fma_f16 v12, -v4, v19, v21
	v_fma_f16 v21, v20, v4, v22
	v_fma_f16 v18, v4, v19, v18
	v_fma_f16 v4, v20, v4, v11
	v_pack_b32_f16 v11, v12, v21
	v_pack_b32_f16 v4, v18, v4
	ds_write_b32 v0, v11 offset:448
	ds_write_b32 v10, v4 offset:6272
	ds_read_b32 v4, v0 offset:896
	ds_read_b32 v11, v10 offset:5824
	s_waitcnt vmcnt(4)
	v_lshrrev_b32_e32 v12, 16, v13
	s_waitcnt lgkmcnt(0)
	v_add_f16_e32 v18, v4, v11
	v_add_f16_sdwa v19, v11, v4 dst_sel:DWORD dst_unused:UNUSED_PAD src0_sel:WORD_1 src1_sel:WORD_1
	v_sub_f16_e32 v20, v4, v11
	v_sub_f16_sdwa v4, v4, v11 dst_sel:DWORD dst_unused:UNUSED_PAD src0_sel:WORD_1 src1_sel:WORD_1
	v_fma_f16 v11, v20, v12, v18
	v_fma_f16 v21, v19, v12, v4
	v_fma_f16 v18, -v20, v12, v18
	v_fma_f16 v4, v19, v12, -v4
	v_fma_f16 v11, -v13, v19, v11
	v_fma_f16 v12, v20, v13, v21
	v_fma_f16 v18, v13, v19, v18
	v_fma_f16 v4, v20, v13, v4
	v_pack_b32_f16 v11, v11, v12
	v_pack_b32_f16 v4, v18, v4
	ds_write_b32 v0, v11 offset:896
	ds_write_b32 v10, v4 offset:5824
	ds_read_b32 v4, v0 offset:1344
	ds_read_b32 v11, v10 offset:5376
	s_waitcnt vmcnt(3)
	v_lshrrev_b32_e32 v12, 16, v14
	s_waitcnt lgkmcnt(0)
	v_add_f16_e32 v13, v4, v11
	v_add_f16_sdwa v18, v11, v4 dst_sel:DWORD dst_unused:UNUSED_PAD src0_sel:WORD_1 src1_sel:WORD_1
	v_sub_f16_e32 v19, v4, v11
	v_sub_f16_sdwa v4, v4, v11 dst_sel:DWORD dst_unused:UNUSED_PAD src0_sel:WORD_1 src1_sel:WORD_1
	;; [unrolled: 21-line block ×5, first 2 shown]
	v_fma_f16 v11, v15, v12, v13
	v_fma_f16 v16, v14, v12, v4
	v_fma_f16 v13, -v15, v12, v13
	v_fma_f16 v4, v14, v12, -v4
	v_fma_f16 v11, -v17, v14, v11
	v_fma_f16 v12, v15, v17, v16
	v_fma_f16 v13, v17, v14, v13
	;; [unrolled: 1-line block ×3, first 2 shown]
	v_pack_b32_f16 v11, v11, v12
	v_pack_b32_f16 v4, v13, v4
	ds_write_b32 v0, v11 offset:2688
	ds_write_b32 v10, v4 offset:4032
	s_and_saveexec_b64 s[4:5], vcc
	s_cbranch_execz .LBB0_21
; %bb.20:
	global_load_dword v4, v[8:9], off offset:3136
	ds_read_b32 v8, v0 offset:3136
	ds_read_b32 v9, v10 offset:3584
	s_waitcnt lgkmcnt(0)
	v_add_f16_e32 v11, v8, v9
	v_add_f16_sdwa v12, v9, v8 dst_sel:DWORD dst_unused:UNUSED_PAD src0_sel:WORD_1 src1_sel:WORD_1
	v_sub_f16_e32 v13, v8, v9
	v_sub_f16_sdwa v8, v8, v9 dst_sel:DWORD dst_unused:UNUSED_PAD src0_sel:WORD_1 src1_sel:WORD_1
	s_waitcnt vmcnt(0)
	v_lshrrev_b32_e32 v9, 16, v4
	v_fma_f16 v14, v13, v9, v11
	v_fma_f16 v15, v12, v9, v8
	v_fma_f16 v11, -v13, v9, v11
	v_fma_f16 v8, v12, v9, -v8
	v_fma_f16 v9, -v4, v12, v14
	v_fma_f16 v14, v13, v4, v15
	v_fma_f16 v11, v4, v12, v11
	;; [unrolled: 1-line block ×3, first 2 shown]
	v_pack_b32_f16 v8, v9, v14
	v_pack_b32_f16 v4, v11, v4
	ds_write_b32 v0, v8 offset:3136
	ds_write_b32 v10, v4 offset:3584
.LBB0_21:
	s_or_b64 exec, exec, s[4:5]
	s_waitcnt lgkmcnt(0)
	s_barrier
	s_barrier
	ds_read2_b32 v[8:9], v0 offset1:112
	v_add_u32_e32 v11, 0xc00, v0
	v_add_u32_e32 v10, 0xa00, v0
	ds_read2_b32 v[11:12], v11 offset0:72 offset1:184
	ds_read2_b32 v[17:18], v10 offset0:32 offset1:144
	v_add_u32_e32 v14, 0x1000, v0
	ds_read2_b32 v[21:22], v14 offset0:40 offset1:152
	v_add_u32_e32 v4, 0x70, v3
	s_waitcnt lgkmcnt(2)
	v_pk_add_f16 v15, v9, v12 neg_lo:[0,1] neg_hi:[0,1]
	v_add_u32_e32 v12, 0x200, v0
	ds_read2_b32 v[23:24], v12 offset0:96 offset1:208
	v_add_u32_e32 v13, 0x1600, v0
	ds_read2_b32 v[19:20], v13 offset0:104 offset1:216
	v_lshl_add_u32 v13, v4, 3, 0
	v_add_u32_e32 v14, 0x600, v0
	v_add_u32_e32 v16, 0x1400, v0
	v_pk_fma_f16 v9, v9, 2.0, v15 op_sel_hi:[1,0,1] neg_lo:[0,0,1] neg_hi:[0,0,1]
	ds_read2_b32 v[25:26], v14 offset0:64 offset1:176
	ds_read2_b32 v[35:36], v16 offset0:8 offset1:120
	s_waitcnt lgkmcnt(0)
	s_barrier
	ds_write2_b32 v13, v9, v15 offset1:1
	v_add_u32_e32 v28, 0xe0, v3
	v_pk_add_f16 v13, v23, v21 neg_lo:[0,1] neg_hi:[0,1]
	v_lshl_add_u32 v9, v28, 3, 0
	v_pk_fma_f16 v15, v23, 2.0, v13 op_sel_hi:[1,0,1] neg_lo:[0,0,1] neg_hi:[0,0,1]
	ds_write2_b32 v9, v15, v13 offset1:1
	v_add_u32_e32 v23, 0x150, v3
	v_pk_add_f16 v9, v24, v22 neg_lo:[0,1] neg_hi:[0,1]
	v_pk_fma_f16 v13, v24, 2.0, v9 op_sel_hi:[1,0,1] neg_lo:[0,0,1] neg_hi:[0,0,1]
	v_lshl_add_u32 v15, v23, 3, 0
	ds_write2_b32 v15, v13, v9 offset1:1
	v_pk_add_f16 v9, v8, v11 neg_lo:[0,1] neg_hi:[0,1]
	v_pk_fma_f16 v8, v8, 2.0, v9 op_sel_hi:[1,0,1] neg_lo:[0,0,1] neg_hi:[0,0,1]
	v_add_u32_e32 v31, v0, v7
	v_add_u32_e32 v22, 0x1c0, v3
	v_pk_add_f16 v34, v18, v20 neg_lo:[0,1] neg_hi:[0,1]
	ds_write2_b32 v31, v8, v9 offset1:1
	v_pk_add_f16 v8, v25, v35 neg_lo:[0,1] neg_hi:[0,1]
	v_add_u32_e32 v29, 0x230, v3
	v_add_u32_e32 v30, 0x2a0, v3
	;; [unrolled: 1-line block ×3, first 2 shown]
	v_pk_fma_f16 v33, v18, 2.0, v34 op_sel_hi:[1,0,1] neg_lo:[0,0,1] neg_hi:[0,0,1]
	v_pk_add_f16 v9, v26, v36 neg_lo:[0,1] neg_hi:[0,1]
	v_pk_fma_f16 v11, v25, 2.0, v8 op_sel_hi:[1,0,1] neg_lo:[0,0,1] neg_hi:[0,0,1]
	v_lshl_add_u32 v15, v22, 3, 0
	v_pk_add_f16 v18, v17, v19 neg_lo:[0,1] neg_hi:[0,1]
	v_pk_fma_f16 v13, v26, 2.0, v9 op_sel_hi:[1,0,1] neg_lo:[0,0,1] neg_hi:[0,0,1]
	v_lshl_add_u32 v19, v29, 3, 0
	v_pk_fma_f16 v17, v17, 2.0, v18 op_sel_hi:[1,0,1] neg_lo:[0,0,1] neg_hi:[0,0,1]
	v_lshl_add_u32 v20, v30, 3, 0
	ds_write2_b32 v15, v11, v8 offset1:1
	ds_write2_b32 v19, v13, v9 offset1:1
	;; [unrolled: 1-line block ×3, first 2 shown]
	s_and_saveexec_b64 s[4:5], vcc
	s_cbranch_execz .LBB0_23
; %bb.22:
	v_lshl_add_u32 v8, v32, 3, 0
	ds_write2_b32 v8, v33, v34 offset1:1
.LBB0_23:
	s_or_b64 exec, exec, s[4:5]
	v_add_u32_e32 v13, 0xe00, v0
	v_add_u32_e32 v15, 0x1200, v0
	s_waitcnt lgkmcnt(0)
	s_barrier
	ds_read2_b32 v[8:9], v0 offset1:112
	ds_read2_b32 v[10:11], v10 offset0:32 offset1:200
	ds_read2_b32 v[20:21], v13 offset0:56 offset1:168
	;; [unrolled: 1-line block ×6, first 2 shown]
	v_lshlrev_b32_e32 v24, 1, v4
	v_lshlrev_b32_e32 v25, 1, v28
	;; [unrolled: 1-line block ×6, first 2 shown]
	v_lshrrev_b32_e32 v35, 16, v34
	s_and_saveexec_b64 s[4:5], vcc
	s_cbranch_execz .LBB0_25
; %bb.24:
	v_sub_u32_e32 v31, v31, v7
	ds_read_b32 v34, v0 offset:6496
	ds_read_b32 v33, v31 offset:3136
	s_waitcnt lgkmcnt(1)
	v_lshrrev_b32_e32 v35, 16, v34
.LBB0_25:
	s_or_b64 exec, exec, s[4:5]
	v_and_b32_e32 v37, 1, v3
	v_lshlrev_b32_e32 v31, 2, v37
	global_load_dword v36, v31, s[12:13]
	s_mov_b32 s6, 0xffff
	v_lshlrev_b32_e32 v31, 1, v3
	s_movk_i32 s4, 0xfc
	s_waitcnt lgkmcnt(0)
	v_lshrrev_b32_e32 v38, 16, v33
	s_movk_i32 s5, 0x1fc
	s_movk_i32 s7, 0x3fc
	;; [unrolled: 1-line block ×4, first 2 shown]
	v_and_or_b32 v39, v31, s4, v37
	v_and_or_b32 v40, v24, s5, v37
	;; [unrolled: 1-line block ×7, first 2 shown]
	v_lshl_add_u32 v39, v39, 2, 0
	v_lshlrev_b32_e32 v32, 1, v32
	s_waitcnt vmcnt(0)
	s_barrier
	v_lshl_add_u32 v40, v40, 2, 0
	v_lshl_add_u32 v41, v41, 2, 0
	;; [unrolled: 1-line block ×6, first 2 shown]
	v_pk_mul_f16 v46, v36, v11 op_sel:[0,1]
	v_pk_mul_f16 v47, v36, v20 op_sel:[0,1]
	;; [unrolled: 1-line block ×7, first 2 shown]
	v_mul_f16_sdwa v53, v35, v36 dst_sel:DWORD dst_unused:UNUSED_PAD src0_sel:DWORD src1_sel:WORD_1
	v_mul_f16_sdwa v54, v34, v36 dst_sel:DWORD dst_unused:UNUSED_PAD src0_sel:DWORD src1_sel:WORD_1
	v_pk_fma_f16 v55, v36, v11, v46 op_sel:[0,0,1] op_sel_hi:[1,1,0]
	v_pk_fma_f16 v11, v36, v11, v46 op_sel:[0,0,1] op_sel_hi:[1,0,0] neg_lo:[1,0,0] neg_hi:[1,0,0]
	v_pk_fma_f16 v46, v36, v20, v47 op_sel:[0,0,1] op_sel_hi:[1,1,0]
	v_pk_fma_f16 v20, v36, v20, v47 op_sel:[0,0,1] op_sel_hi:[1,0,0] neg_lo:[1,0,0] neg_hi:[1,0,0]
	;; [unrolled: 2-line block ×7, first 2 shown]
	v_fma_f16 v34, v34, v36, v53
	v_fma_f16 v36, v35, v36, -v54
	v_bfi_b32 v11, s6, v55, v11
	v_bfi_b32 v20, s6, v46, v20
	;; [unrolled: 1-line block ×6, first 2 shown]
	v_sub_f16_e32 v35, v33, v34
	v_sub_f16_e32 v36, v38, v36
	v_bfi_b32 v16, s6, v48, v16
	v_pk_add_f16 v11, v8, v11 neg_lo:[0,1] neg_hi:[0,1]
	v_pk_add_f16 v20, v9, v20 neg_lo:[0,1] neg_hi:[0,1]
	;; [unrolled: 1-line block ×3, first 2 shown]
	v_fma_f16 v33, v33, 2.0, -v35
	v_fma_f16 v34, v38, 2.0, -v36
	v_pk_add_f16 v21, v12, v21 neg_lo:[0,1] neg_hi:[0,1]
	v_pk_add_f16 v18, v13, v18 neg_lo:[0,1] neg_hi:[0,1]
	;; [unrolled: 1-line block ×4, first 2 shown]
	v_pk_fma_f16 v8, v8, 2.0, v11 op_sel_hi:[1,0,1] neg_lo:[0,0,1] neg_hi:[0,0,1]
	v_pk_fma_f16 v9, v9, 2.0, v20 op_sel_hi:[1,0,1] neg_lo:[0,0,1] neg_hi:[0,0,1]
	;; [unrolled: 1-line block ×7, first 2 shown]
	ds_write2_b32 v39, v8, v11 offset1:2
	ds_write2_b32 v40, v9, v20 offset1:2
	;; [unrolled: 1-line block ×7, first 2 shown]
	s_and_saveexec_b64 s[4:5], vcc
	s_cbranch_execz .LBB0_27
; %bb.26:
	s_movk_i32 s6, 0x6fc
	v_and_or_b32 v8, v32, s6, v37
	s_mov_b32 s6, 0x5040100
	v_lshl_add_u32 v8, v8, 2, 0
	v_perm_b32 v9, v34, v33, s6
	v_perm_b32 v10, v36, v35, s6
	ds_write2_b32 v8, v9, v10 offset1:2
.LBB0_27:
	s_or_b64 exec, exec, s[4:5]
	v_add_u32_e32 v10, 0xa00, v0
	s_waitcnt lgkmcnt(0)
	s_barrier
	ds_read2_b32 v[12:13], v10 offset0:32 offset1:200
	v_add_u32_e32 v10, 0xe00, v0
	v_add_u32_e32 v14, 0x1200, v0
	ds_read2_b32 v[16:17], v10 offset0:56 offset1:168
	v_add_u32_e32 v10, 0x200, v0
	ds_read2_b32 v[18:19], v14 offset0:24 offset1:136
	v_add_u32_e32 v14, 0x600, v0
	v_add_u32_e32 v20, 0x1400, v0
	ds_read2_b32 v[8:9], v0 offset1:112
	ds_read2_b32 v[10:11], v10 offset0:96 offset1:208
	ds_read2_b32 v[14:15], v14 offset0:64 offset1:176
	;; [unrolled: 1-line block ×3, first 2 shown]
	s_and_saveexec_b64 s[4:5], vcc
	s_cbranch_execz .LBB0_29
; %bb.28:
	ds_read_b32 v33, v0 offset:3136
	ds_read_b32 v35, v0 offset:6496
	s_waitcnt lgkmcnt(1)
	v_lshrrev_b32_e32 v34, 16, v33
	s_waitcnt lgkmcnt(0)
	v_lshrrev_b32_e32 v36, 16, v35
.LBB0_29:
	s_or_b64 exec, exec, s[4:5]
	v_and_b32_e32 v37, 3, v3
	v_lshlrev_b32_e32 v38, 2, v37
	global_load_dword v38, v38, s[12:13] offset:8
	s_mov_b32 s9, 0xffff
	s_movk_i32 s4, 0xf8
	s_movk_i32 s5, 0x1f8
	;; [unrolled: 1-line block ×5, first 2 shown]
	v_and_or_b32 v39, v31, s4, v37
	v_and_or_b32 v40, v24, s5, v37
	;; [unrolled: 1-line block ×7, first 2 shown]
	v_lshl_add_u32 v39, v39, 2, 0
	v_lshl_add_u32 v40, v40, 2, 0
	;; [unrolled: 1-line block ×7, first 2 shown]
	s_waitcnt vmcnt(0) lgkmcnt(0)
	s_barrier
	v_pk_mul_f16 v46, v38, v21 op_sel:[0,1]
	v_pk_mul_f16 v47, v38, v16 op_sel:[0,1]
	;; [unrolled: 1-line block ×7, first 2 shown]
	v_mul_f16_sdwa v52, v36, v38 dst_sel:DWORD dst_unused:UNUSED_PAD src0_sel:DWORD src1_sel:WORD_1
	v_mul_f16_sdwa v53, v35, v38 dst_sel:DWORD dst_unused:UNUSED_PAD src0_sel:DWORD src1_sel:WORD_1
	v_pk_fma_f16 v55, v38, v16, v47 op_sel:[0,0,1] op_sel_hi:[1,1,0]
	v_pk_fma_f16 v16, v38, v16, v47 op_sel:[0,0,1] op_sel_hi:[1,0,0] neg_lo:[1,0,0] neg_hi:[1,0,0]
	v_pk_fma_f16 v47, v38, v17, v48 op_sel:[0,0,1] op_sel_hi:[1,1,0]
	v_pk_fma_f16 v17, v38, v17, v48 op_sel:[0,0,1] op_sel_hi:[1,0,0] neg_lo:[1,0,0] neg_hi:[1,0,0]
	;; [unrolled: 2-line block ×7, first 2 shown]
	v_fma_f16 v35, v35, v38, v52
	v_fma_f16 v36, v36, v38, -v53
	v_bfi_b32 v13, s9, v51, v13
	v_bfi_b32 v21, s9, v50, v21
	;; [unrolled: 1-line block ×6, first 2 shown]
	v_sub_f16_e32 v35, v33, v35
	v_sub_f16_e32 v36, v34, v36
	v_bfi_b32 v20, s9, v46, v20
	v_pk_add_f16 v13, v8, v13 neg_lo:[0,1] neg_hi:[0,1]
	v_pk_add_f16 v21, v12, v21 neg_lo:[0,1] neg_hi:[0,1]
	v_fma_f16 v33, v33, 2.0, -v35
	v_fma_f16 v34, v34, 2.0, -v36
	v_pk_add_f16 v16, v9, v16 neg_lo:[0,1] neg_hi:[0,1]
	v_pk_add_f16 v17, v10, v17 neg_lo:[0,1] neg_hi:[0,1]
	;; [unrolled: 1-line block ×5, first 2 shown]
	v_pk_fma_f16 v8, v8, 2.0, v13 op_sel_hi:[1,0,1] neg_lo:[0,0,1] neg_hi:[0,0,1]
	v_pk_fma_f16 v12, v12, 2.0, v21 op_sel_hi:[1,0,1] neg_lo:[0,0,1] neg_hi:[0,0,1]
	;; [unrolled: 1-line block ×7, first 2 shown]
	ds_write2_b32 v39, v8, v13 offset1:4
	ds_write2_b32 v40, v9, v16 offset1:4
	ds_write2_b32 v41, v10, v17 offset1:4
	ds_write2_b32 v42, v11, v18 offset1:4
	ds_write2_b32 v43, v14, v19 offset1:4
	ds_write2_b32 v44, v15, v20 offset1:4
	ds_write2_b32 v45, v12, v21 offset1:4
	s_and_saveexec_b64 s[4:5], vcc
	s_cbranch_execz .LBB0_31
; %bb.30:
	s_movk_i32 s6, 0x6f8
	v_and_or_b32 v8, v32, s6, v37
	s_mov_b32 s6, 0x5040100
	v_lshl_add_u32 v8, v8, 2, 0
	v_perm_b32 v9, v34, v33, s6
	v_perm_b32 v10, v36, v35, s6
	ds_write2_b32 v8, v9, v10 offset1:4
.LBB0_31:
	s_or_b64 exec, exec, s[4:5]
	v_add_u32_e32 v12, 0xe00, v0
	v_add_u32_e32 v14, 0x1200, v0
	s_waitcnt lgkmcnt(0)
	s_barrier
	v_add_u32_e32 v8, 0xa00, v0
	ds_read2_b32 v[16:17], v12 offset0:56 offset1:168
	v_add_u32_e32 v12, 0x200, v0
	ds_read2_b32 v[18:19], v14 offset0:24 offset1:136
	v_add_u32_e32 v14, 0x600, v0
	v_add_u32_e32 v20, 0x1400, v0
	ds_read2_b32 v[10:11], v0 offset1:112
	ds_read2_b32 v[8:9], v8 offset0:32 offset1:200
	ds_read2_b32 v[12:13], v12 offset0:96 offset1:208
	;; [unrolled: 1-line block ×4, first 2 shown]
	s_and_saveexec_b64 s[4:5], vcc
	s_cbranch_execz .LBB0_33
; %bb.32:
	ds_read_b32 v33, v0 offset:3136
	ds_read_b32 v35, v0 offset:6496
	s_waitcnt lgkmcnt(1)
	v_lshrrev_b32_e32 v34, 16, v33
	s_waitcnt lgkmcnt(0)
	v_lshrrev_b32_e32 v36, 16, v35
.LBB0_33:
	s_or_b64 exec, exec, s[4:5]
	v_and_b32_e32 v37, 7, v3
	v_lshlrev_b32_e32 v38, 2, v37
	global_load_dword v38, v38, s[12:13] offset:24
	s_movk_i32 s8, 0x5f0
	v_and_or_b32 v29, v29, s8, v37
	v_lshl_add_u32 v39, v29, 2, 0
	s_movk_i32 s4, 0xf0
	s_movk_i32 s5, 0x1f0
	;; [unrolled: 1-line block ×4, first 2 shown]
	v_and_or_b32 v31, v31, s4, v37
	v_and_or_b32 v24, v24, s5, v37
	;; [unrolled: 1-line block ×6, first 2 shown]
	v_lshl_add_u32 v31, v31, 2, 0
	v_lshl_add_u32 v24, v24, 2, 0
	;; [unrolled: 1-line block ×6, first 2 shown]
	s_waitcnt vmcnt(0) lgkmcnt(0)
	s_barrier
	v_pk_mul_f16 v29, v38, v21 op_sel:[0,1]
	v_pk_mul_f16 v40, v38, v16 op_sel:[0,1]
	v_pk_mul_f16 v41, v38, v17 op_sel:[0,1]
	v_pk_mul_f16 v42, v38, v18 op_sel:[0,1]
	v_pk_mul_f16 v43, v38, v19 op_sel:[0,1]
	v_pk_mul_f16 v44, v38, v20 op_sel:[0,1]
	v_mul_f16_sdwa v45, v36, v38 dst_sel:DWORD dst_unused:UNUSED_PAD src0_sel:DWORD src1_sel:WORD_1
	v_mul_f16_sdwa v46, v35, v38 dst_sel:DWORD dst_unused:UNUSED_PAD src0_sel:DWORD src1_sel:WORD_1
	v_pk_mul_f16 v47, v38, v9 op_sel:[0,1]
	v_pk_fma_f16 v48, v38, v16, v40 op_sel:[0,0,1] op_sel_hi:[1,1,0]
	v_pk_fma_f16 v16, v38, v16, v40 op_sel:[0,0,1] op_sel_hi:[1,0,0] neg_lo:[1,0,0] neg_hi:[1,0,0]
	v_pk_fma_f16 v40, v38, v17, v41 op_sel:[0,0,1] op_sel_hi:[1,1,0]
	v_pk_fma_f16 v17, v38, v17, v41 op_sel:[0,0,1] op_sel_hi:[1,0,0] neg_lo:[1,0,0] neg_hi:[1,0,0]
	;; [unrolled: 2-line block ×6, first 2 shown]
	v_fma_f16 v29, v35, v38, v45
	v_fma_f16 v35, v36, v38, -v46
	v_pk_fma_f16 v36, v38, v9, v47 op_sel:[0,0,1] op_sel_hi:[1,1,0]
	v_pk_fma_f16 v38, v38, v9, v47 op_sel:[0,0,1] op_sel_hi:[1,0,0] neg_lo:[1,0,0] neg_hi:[1,0,0]
	v_sub_f16_e32 v9, v33, v29
	v_sub_f16_e32 v29, v34, v35
	v_bfi_b32 v35, s9, v36, v38
	v_bfi_b32 v21, s9, v43, v21
	;; [unrolled: 1-line block ×7, first 2 shown]
	v_pk_add_f16 v35, v10, v35 neg_lo:[0,1] neg_hi:[0,1]
	v_pk_add_f16 v21, v8, v21 neg_lo:[0,1] neg_hi:[0,1]
	;; [unrolled: 1-line block ×7, first 2 shown]
	v_pk_fma_f16 v10, v10, 2.0, v35 op_sel_hi:[1,0,1] neg_lo:[0,0,1] neg_hi:[0,0,1]
	v_pk_fma_f16 v8, v8, 2.0, v21 op_sel_hi:[1,0,1] neg_lo:[0,0,1] neg_hi:[0,0,1]
	;; [unrolled: 1-line block ×7, first 2 shown]
	ds_write2_b32 v31, v10, v35 offset1:8
	ds_write2_b32 v24, v11, v16 offset1:8
	;; [unrolled: 1-line block ×7, first 2 shown]
	s_and_saveexec_b64 s[4:5], vcc
	s_cbranch_execz .LBB0_35
; %bb.34:
	s_movk_i32 s6, 0x6f0
	v_and_or_b32 v8, v32, s6, v37
	v_fma_f16 v10, v33, 2.0, -v9
	v_fma_f16 v11, v34, 2.0, -v29
	s_mov_b32 s6, 0x5040100
	v_lshl_add_u32 v8, v8, 2, 0
	v_pack_b32_f16 v10, v10, v11
	v_perm_b32 v11, v29, v9, s6
	ds_write2_b32 v8, v10, v11 offset1:8
.LBB0_35:
	s_or_b64 exec, exec, s[4:5]
	v_and_b32_e32 v12, 15, v3
	v_lshlrev_b32_e32 v8, 3, v12
	s_waitcnt lgkmcnt(0)
	s_barrier
	global_load_dwordx2 v[13:14], v8, s[12:13] offset:56
	v_add_u32_e32 v8, 0x1000, v0
	v_add_u32_e32 v17, 0x1400, v0
	;; [unrolled: 1-line block ×4, first 2 shown]
	ds_read2_b32 v[15:16], v15 offset0:128 offset1:240
	ds_read2_b32 v[17:18], v17 offset0:64 offset1:176
	;; [unrolled: 1-line block ×4, first 2 shown]
	ds_read_b32 v8, v0 offset:6272
	s_waitcnt lgkmcnt(4)
	v_lshrrev_b32_e32 v21, 16, v15
	s_waitcnt lgkmcnt(3)
	v_lshrrev_b32_e32 v26, 16, v18
	;; [unrolled: 2-line block ×3, first 2 shown]
	v_lshrrev_b32_e32 v31, 16, v20
	s_waitcnt lgkmcnt(1)
	v_lshrrev_b32_e32 v32, 16, v25
	v_lshrrev_b32_e32 v30, 16, v24
	;; [unrolled: 1-line block ×3, first 2 shown]
	v_add_u32_e32 v11, 0x600, v0
	s_mov_b32 s4, 0xbaee
	s_movk_i32 s5, 0x3aee
	v_lshrrev_b32_e32 v43, 4, v3
	v_mul_u32_u24_e32 v43, 48, v43
	v_or_b32_e32 v43, v43, v12
	v_lshl_add_u32 v43, v43, 2, 0
	v_cmp_gt_u32_e32 vcc, 16, v3
	s_waitcnt vmcnt(0)
	v_mul_f16_sdwa v34, v14, v27 dst_sel:DWORD dst_unused:UNUSED_PAD src0_sel:WORD_1 src1_sel:DWORD
	v_mul_f16_sdwa v38, v14, v31 dst_sel:DWORD dst_unused:UNUSED_PAD src0_sel:WORD_1 src1_sel:DWORD
	;; [unrolled: 1-line block ×6, first 2 shown]
	v_fma_f16 v19, v14, v19, v34
	v_fma_f16 v20, v14, v20, v38
	v_mul_f16_sdwa v34, v13, v25 dst_sel:DWORD dst_unused:UNUSED_PAD src0_sel:WORD_1 src1_sel:DWORD
	v_mul_f16_sdwa v38, v14, v33 dst_sel:DWORD dst_unused:UNUSED_PAD src0_sel:WORD_1 src1_sel:DWORD
	v_fma_f16 v25, v13, v25, v40
	v_mul_f16_sdwa v40, v26, v14 dst_sel:DWORD dst_unused:UNUSED_PAD src0_sel:DWORD src1_sel:WORD_1
	v_mul_f16_sdwa v37, v13, v24 dst_sel:DWORD dst_unused:UNUSED_PAD src0_sel:WORD_1 src1_sel:DWORD
	v_fma_f16 v24, v13, v24, v36
	v_mul_f16_sdwa v36, v14, v17 dst_sel:DWORD dst_unused:UNUSED_PAD src0_sel:WORD_1 src1_sel:DWORD
	v_fma_f16 v38, v14, v17, v38
	v_fma_f16 v40, v18, v14, v40
	v_mul_f16_sdwa v17, v18, v14 dst_sel:DWORD dst_unused:UNUSED_PAD src0_sel:DWORD src1_sel:WORD_1
	v_lshrrev_b32_e32 v18, 16, v16
	v_fma_f16 v27, v14, v27, -v35
	v_mul_f16_sdwa v35, v21, v13 dst_sel:DWORD dst_unused:UNUSED_PAD src0_sel:DWORD src1_sel:WORD_1
	v_fma_f16 v31, v14, v31, -v39
	v_mul_f16_sdwa v39, v18, v13 dst_sel:DWORD dst_unused:UNUSED_PAD src0_sel:DWORD src1_sel:WORD_1
	;; [unrolled: 2-line block ×4, first 2 shown]
	v_fma_f16 v35, v15, v13, v35
	v_fma_f16 v39, v16, v13, v39
	ds_read2_b32 v[15:16], v11 offset0:64 offset1:176
	v_fma_f16 v33, v14, v33, -v36
	s_waitcnt lgkmcnt(1)
	v_lshrrev_b32_e32 v36, 16, v8
	v_fma_f16 v21, v21, v13, -v37
	v_fma_f16 v26, v26, v14, -v17
	s_waitcnt lgkmcnt(0)
	v_lshrrev_b32_e32 v37, 16, v16
	v_mul_f16_sdwa v17, v13, v16 dst_sel:DWORD dst_unused:UNUSED_PAD src0_sel:WORD_1 src1_sel:DWORD
	v_fma_f16 v18, v18, v13, -v34
	v_mul_f16_sdwa v34, v36, v14 dst_sel:DWORD dst_unused:UNUSED_PAD src0_sel:DWORD src1_sel:WORD_1
	v_fma_f16 v17, v13, v37, -v17
	v_mul_f16_sdwa v37, v13, v37 dst_sel:DWORD dst_unused:UNUSED_PAD src0_sel:WORD_1 src1_sel:DWORD
	v_fma_f16 v34, v8, v14, v34
	v_mul_f16_sdwa v8, v8, v14 dst_sel:DWORD dst_unused:UNUSED_PAD src0_sel:DWORD src1_sel:WORD_1
	v_fma_f16 v16, v13, v16, v37
	v_fma_f16 v36, v36, v14, -v8
	ds_read2_b32 v[13:14], v0 offset1:112
	v_add_f16_e32 v37, v16, v19
	v_sub_f16_e32 v41, v16, v19
	s_waitcnt lgkmcnt(0)
	v_add_f16_e32 v8, v13, v16
	v_lshrrev_b32_e32 v16, 16, v13
	v_add_f16_e32 v8, v8, v19
	v_sub_f16_e32 v19, v17, v27
	v_add_f16_e32 v42, v16, v17
	v_add_f16_e32 v17, v17, v27
	;; [unrolled: 1-line block ×3, first 2 shown]
	v_fma_f16 v42, v17, -0.5, v16
	v_fma_f16 v13, v37, -0.5, v13
	v_fma_f16 v16, v19, s4, v13
	v_fma_f16 v17, v41, s5, v42
	v_add_u32_e32 v37, 0x200, v0
	v_pack_b32_f16 v8, v8, v27
	v_pack_b32_f16 v27, v16, v17
	ds_read2_b32 v[16:17], v37 offset0:96 offset1:208
	s_waitcnt lgkmcnt(0)
	s_barrier
	ds_write2_b32 v43, v8, v27 offset1:16
	v_fma_f16 v8, v19, s5, v13
	v_fma_f16 v13, v41, s4, v42
	v_add_f16_e32 v19, v24, v20
	v_fma_f16 v19, v19, -0.5, v14
	v_lshrrev_b32_e32 v27, 16, v14
	v_sub_f16_e32 v41, v30, v31
	v_pack_b32_f16 v8, v8, v13
	v_add_f16_e32 v14, v14, v24
	v_fma_f16 v42, v41, s4, v19
	v_fma_f16 v19, v41, s5, v19
	v_add_f16_e32 v41, v27, v30
	v_add_f16_e32 v30, v30, v31
	ds_write_b32 v43, v8 offset:128
	v_add_f16_e32 v8, v25, v38
	v_fma_f16 v27, v30, -0.5, v27
	v_add_f16_e32 v14, v14, v20
	v_sub_f16_e32 v20, v24, v20
	v_fma_f16 v8, v8, -0.5, v16
	v_sub_f16_e32 v13, v32, v33
	v_fma_f16 v24, v20, s5, v27
	v_fma_f16 v20, v20, s4, v27
	;; [unrolled: 1-line block ×4, first 2 shown]
	v_lshrrev_b32_e32 v8, 16, v16
	v_add_f16_e32 v30, v8, v32
	v_add_f16_e32 v41, v41, v31
	;; [unrolled: 1-line block ×4, first 2 shown]
	v_fma_f16 v8, v30, -0.5, v8
	v_add_f16_e32 v16, v16, v25
	v_sub_f16_e32 v25, v25, v38
	v_fma_f16 v32, v25, s5, v8
	v_fma_f16 v25, v25, s4, v8
	v_add_f16_e32 v8, v35, v40
	v_fma_f16 v8, v8, -0.5, v17
	v_lshrrev_b32_e32 v30, 16, v17
	v_sub_f16_e32 v33, v21, v26
	v_add_f16_e32 v16, v16, v38
	v_fma_f16 v38, v33, s4, v8
	v_fma_f16 v33, v33, s5, v8
	v_add_f16_e32 v8, v30, v21
	v_add_f16_e32 v43, v8, v26
	;; [unrolled: 1-line block ×3, first 2 shown]
	v_fma_f16 v8, v8, -0.5, v30
	v_sub_f16_e32 v21, v35, v40
	v_add_f16_e32 v17, v17, v35
	v_fma_f16 v26, v21, s5, v8
	v_fma_f16 v21, v21, s4, v8
	v_add_f16_e32 v8, v39, v34
	v_add_f16_e32 v17, v17, v40
	v_fma_f16 v30, v8, -0.5, v15
	v_lshrrev_b32_e32 v35, 16, v15
	v_sub_f16_e32 v40, v18, v36
	v_fma_f16 v8, v40, s5, v30
	v_fma_f16 v40, v40, s4, v30
	v_add_f16_e32 v30, v35, v18
	v_add_f16_e32 v18, v18, v36
	;; [unrolled: 1-line block ×4, first 2 shown]
	v_fma_f16 v18, v18, -0.5, v35
	v_sub_f16_e32 v30, v39, v34
	v_add_f16_e32 v15, v15, v34
	v_fma_f16 v34, v30, s5, v18
	v_fma_f16 v30, v30, s4, v18
	v_lshrrev_b32_e32 v18, 4, v4
	v_mul_u32_u24_e32 v18, 48, v18
	v_or_b32_e32 v18, v18, v12
	v_lshl_add_u32 v18, v18, 2, 0
	v_pack_b32_f16 v14, v14, v41
	v_pack_b32_f16 v24, v42, v24
	ds_write2_b32 v18, v14, v24 offset1:16
	v_pack_b32_f16 v14, v19, v20
	ds_write_b32 v18, v14 offset:128
	v_lshrrev_b32_e32 v14, 4, v28
	v_mul_u32_u24_e32 v14, 48, v14
	v_or_b32_e32 v14, v14, v12
	v_lshl_add_u32 v14, v14, 2, 0
	v_pack_b32_f16 v13, v13, v25
	ds_write_b32 v14, v13 offset:128
	v_lshrrev_b32_e32 v13, 4, v23
	v_mul_u32_u24_e32 v13, 48, v13
	v_pack_b32_f16 v16, v16, v31
	v_pack_b32_f16 v18, v27, v32
	v_or_b32_e32 v13, v13, v12
	ds_write2_b32 v14, v16, v18 offset1:16
	v_lshl_add_u32 v13, v13, 2, 0
	v_pack_b32_f16 v14, v17, v43
	v_pack_b32_f16 v16, v38, v26
	ds_write2_b32 v13, v14, v16 offset1:16
	v_pack_b32_f16 v14, v33, v21
	ds_write_b32 v13, v14 offset:128
	v_lshrrev_b32_e32 v13, 4, v22
	v_mul_u32_u24_e32 v13, 48, v13
	v_or_b32_e32 v12, v13, v12
	v_lshl_add_u32 v12, v12, 2, 0
	v_pack_b32_f16 v13, v15, v44
	v_pack_b32_f16 v14, v40, v34
	ds_write2_b32 v12, v13, v14 offset1:16
	v_pack_b32_f16 v13, v8, v30
	ds_write_b32 v12, v13 offset:128
	s_waitcnt lgkmcnt(0)
	s_barrier
	ds_read2_b32 v[14:15], v0 offset1:112
	ds_read2_b32 v[26:27], v37 offset0:112 offset1:224
	ds_read2_b32 v[24:25], v11 offset0:96 offset1:208
	ds_read2_b32 v[20:21], v10 offset0:80 offset1:192
	v_add_u32_e32 v10, 0xe00, v0
	ds_read2_b32 v[22:23], v10 offset0:64 offset1:176
	v_add_u32_e32 v10, 0x1200, v0
	ds_read2_b32 v[18:19], v10 offset0:48 offset1:160
	v_add_u32_e32 v10, 0x1600, v0
	ds_read2_b32 v[16:17], v10 offset0:32 offset1:144
                                        ; implicit-def: $vgpr31
                                        ; implicit-def: $vgpr10
                                        ; implicit-def: $vgpr32
                                        ; implicit-def: $vgpr12
                                        ; implicit-def: $vgpr35
                                        ; implicit-def: $vgpr36
                                        ; implicit-def: $vgpr33
                                        ; implicit-def: $vgpr34
	s_and_saveexec_b64 s[4:5], vcc
	s_cbranch_execz .LBB0_37
; %bb.36:
	v_add_u32_e32 v8, 0x380, v0
	v_add_u32_e32 v10, 0xb00, v0
	;; [unrolled: 1-line block ×3, first 2 shown]
	ds_read2_b32 v[8:9], v8 offset1:240
	ds_read2_b32 v[10:11], v10 offset1:240
	ds_read2_b32 v[12:13], v12 offset1:240
	ds_read_b32 v36, v0 offset:6656
	s_waitcnt lgkmcnt(3)
	v_lshrrev_b32_e32 v30, 16, v8
	v_lshrrev_b32_e32 v29, 16, v9
	s_waitcnt lgkmcnt(2)
	v_lshrrev_b32_e32 v31, 16, v10
	v_lshrrev_b32_e32 v34, 16, v11
	;; [unrolled: 3-line block ×3, first 2 shown]
	s_waitcnt lgkmcnt(0)
	v_lshrrev_b32_e32 v35, 16, v36
.LBB0_37:
	s_or_b64 exec, exec, s[4:5]
	s_movk_i32 s4, 0xab
	v_mul_lo_u16_sdwa v37, v3, s4 dst_sel:DWORD dst_unused:UNUSED_PAD src0_sel:BYTE_0 src1_sel:DWORD
	v_lshrrev_b16_e32 v37, 13, v37
	v_mul_lo_u16_e32 v38, 48, v37
	v_sub_u16_e32 v38, v3, v38
	v_mov_b32_e32 v43, 6
	v_mul_u32_u24_sdwa v39, v38, v43 dst_sel:DWORD dst_unused:UNUSED_PAD src0_sel:BYTE_0 src1_sel:DWORD
	v_lshlrev_b32_e32 v44, 2, v39
	global_load_dwordx4 v[39:42], v44, s[12:13] offset:184
	v_mul_lo_u16_sdwa v49, v4, s4 dst_sel:DWORD dst_unused:UNUSED_PAD src0_sel:BYTE_0 src1_sel:DWORD
	v_lshrrev_b16_e32 v49, 13, v49
	v_mul_lo_u16_e32 v50, 48, v49
	v_sub_u16_e32 v50, v4, v50
	s_waitcnt lgkmcnt(5)
	v_lshrrev_b32_e32 v45, 16, v26
	s_waitcnt lgkmcnt(4)
	v_lshrrev_b32_e32 v46, 16, v24
	;; [unrolled: 2-line block ×4, first 2 shown]
	v_mul_u32_u24_sdwa v43, v50, v43 dst_sel:DWORD dst_unused:UNUSED_PAD src0_sel:BYTE_0 src1_sel:DWORD
	v_lshlrev_b32_e32 v43, 2, v43
	v_lshrrev_b32_e32 v57, 16, v23
	s_movk_i32 s8, 0x2b26
	s_movk_i32 s6, 0x39e0
	s_mov_b32 s9, 0xb9e0
	s_mov_b32 s7, 0xbb00
	;; [unrolled: 1-line block ×3, first 2 shown]
	s_movk_i32 s16, 0x3574
	s_mov_b32 s17, 0xbcab
	s_mov_b32 s15, 0xb70e
	v_mul_u32_u24_e32 v37, 0x540, v37
	s_waitcnt vmcnt(0)
	v_mul_f16_sdwa v52, v39, v26 dst_sel:DWORD dst_unused:UNUSED_PAD src0_sel:WORD_1 src1_sel:DWORD
	v_mul_f16_sdwa v54, v40, v24 dst_sel:DWORD dst_unused:UNUSED_PAD src0_sel:WORD_1 src1_sel:DWORD
	;; [unrolled: 1-line block ×6, first 2 shown]
	v_fma_f16 v45, v39, v45, -v52
	v_mul_f16_sdwa v52, v42, v48 dst_sel:DWORD dst_unused:UNUSED_PAD src0_sel:WORD_1 src1_sel:DWORD
	v_fma_f16 v46, v40, v46, -v54
	v_mul_f16_sdwa v54, v42, v22 dst_sel:DWORD dst_unused:UNUSED_PAD src0_sel:WORD_1 src1_sel:DWORD
	v_fma_f16 v26, v39, v26, v51
	v_fma_f16 v24, v40, v24, v53
	;; [unrolled: 1-line block ×3, first 2 shown]
	v_fma_f16 v47, v41, v47, -v56
	v_fma_f16 v52, v42, v22, v52
	v_fma_f16 v48, v42, v48, -v54
	global_load_dwordx4 v[39:42], v43, s[12:13] offset:184
	v_lshrrev_b32_e32 v20, 16, v27
	v_lshrrev_b32_e32 v55, 16, v21
	s_waitcnt vmcnt(0)
	v_mul_f16_sdwa v22, v39, v20 dst_sel:DWORD dst_unused:UNUSED_PAD src0_sel:WORD_1 src1_sel:DWORD
	v_fma_f16 v53, v39, v27, v22
	v_mul_f16_sdwa v22, v39, v27 dst_sel:DWORD dst_unused:UNUSED_PAD src0_sel:WORD_1 src1_sel:DWORD
	v_lshrrev_b32_e32 v27, 16, v25
	v_mul_f16_sdwa v54, v40, v27 dst_sel:DWORD dst_unused:UNUSED_PAD src0_sel:WORD_1 src1_sel:DWORD
	v_mul_f16_sdwa v56, v55, v41 dst_sel:DWORD dst_unused:UNUSED_PAD src0_sel:DWORD src1_sel:WORD_1
	v_fma_f16 v54, v40, v25, v54
	v_mul_f16_sdwa v25, v40, v25 dst_sel:DWORD dst_unused:UNUSED_PAD src0_sel:WORD_1 src1_sel:DWORD
	v_fma_f16 v56, v21, v41, v56
	v_mul_f16_sdwa v21, v21, v41 dst_sel:DWORD dst_unused:UNUSED_PAD src0_sel:DWORD src1_sel:WORD_1
	v_fma_f16 v39, v39, v20, -v22
	v_fma_f16 v25, v40, v27, -v25
	;; [unrolled: 1-line block ×3, first 2 shown]
	global_load_dwordx2 v[20:21], v44, s[12:13] offset:200
	v_mul_f16_sdwa v58, v57, v42 dst_sel:DWORD dst_unused:UNUSED_PAD src0_sel:DWORD src1_sel:WORD_1
	v_fma_f16 v58, v23, v42, v58
	v_mul_f16_sdwa v23, v23, v42 dst_sel:DWORD dst_unused:UNUSED_PAD src0_sel:DWORD src1_sel:WORD_1
	v_fma_f16 v40, v57, v42, -v23
	global_load_dwordx2 v[22:23], v43, s[12:13] offset:200
	s_waitcnt lgkmcnt(1)
	v_lshrrev_b32_e32 v41, 16, v18
	s_waitcnt lgkmcnt(0)
	v_lshrrev_b32_e32 v42, 16, v16
	s_waitcnt vmcnt(0)
	s_barrier
	v_mul_f16_sdwa v44, v20, v18 dst_sel:DWORD dst_unused:UNUSED_PAD src0_sel:WORD_1 src1_sel:DWORD
	v_mul_f16_sdwa v43, v20, v41 dst_sel:DWORD dst_unused:UNUSED_PAD src0_sel:WORD_1 src1_sel:DWORD
	v_fma_f16 v41, v20, v41, -v44
	v_mul_f16_sdwa v44, v21, v16 dst_sel:DWORD dst_unused:UNUSED_PAD src0_sel:WORD_1 src1_sel:DWORD
	v_fma_f16 v44, v21, v42, -v44
	v_mul_f16_sdwa v42, v21, v42 dst_sel:DWORD dst_unused:UNUSED_PAD src0_sel:WORD_1 src1_sel:DWORD
	v_fma_f16 v18, v20, v18, v43
	v_lshrrev_b32_e32 v20, 16, v19
	v_fma_f16 v16, v21, v16, v42
	v_mul_f16_sdwa v21, v20, v22 dst_sel:DWORD dst_unused:UNUSED_PAD src0_sel:DWORD src1_sel:WORD_1
	v_lshrrev_b32_e32 v42, 16, v17
	v_fma_f16 v21, v19, v22, v21
	v_mul_f16_sdwa v19, v19, v22 dst_sel:DWORD dst_unused:UNUSED_PAD src0_sel:DWORD src1_sel:WORD_1
	v_mul_f16_sdwa v43, v42, v23 dst_sel:DWORD dst_unused:UNUSED_PAD src0_sel:DWORD src1_sel:WORD_1
	v_fma_f16 v43, v17, v23, v43
	v_mul_f16_sdwa v17, v17, v23 dst_sel:DWORD dst_unused:UNUSED_PAD src0_sel:DWORD src1_sel:WORD_1
	v_fma_f16 v19, v20, v22, -v19
	v_add_f16_e32 v20, v26, v16
	v_sub_f16_e32 v16, v26, v16
	v_add_f16_e32 v26, v24, v18
	v_fma_f16 v17, v42, v23, -v17
	v_add_f16_e32 v22, v45, v44
	v_sub_f16_e32 v23, v45, v44
	v_add_f16_e32 v42, v46, v41
	v_sub_f16_e32 v18, v24, v18
	v_sub_f16_e32 v24, v46, v41
	v_add_f16_e32 v41, v51, v52
	v_add_f16_e32 v44, v47, v48
	v_sub_f16_e32 v45, v52, v51
	v_sub_f16_e32 v46, v48, v47
	v_add_f16_e32 v47, v26, v20
	v_add_f16_e32 v48, v42, v22
	v_sub_f16_e32 v51, v26, v20
	v_sub_f16_e32 v20, v20, v41
	v_sub_f16_e32 v26, v41, v26
	v_add_f16_e32 v41, v41, v47
	v_add_f16_e32 v47, v45, v18
	v_sub_f16_e32 v52, v42, v22
	v_sub_f16_e32 v22, v22, v44
	v_sub_f16_e32 v42, v44, v42
	v_add_f16_e32 v44, v44, v48
	v_sub_f16_e32 v48, v45, v18
	v_sub_f16_e32 v45, v16, v45
	;; [unrolled: 1-line block ×3, first 2 shown]
	v_add_f16_e32 v16, v47, v16
	v_add_f16_e32 v47, v46, v24
	v_sub_f16_e32 v55, v46, v24
	v_sub_f16_e32 v46, v23, v46
	;; [unrolled: 1-line block ×3, first 2 shown]
	v_add_f16_e32 v23, v47, v23
	v_mul_f16_e32 v20, 0x3a52, v20
	v_mul_f16_e32 v47, 0x2b26, v26
	v_fma_f16 v26, v26, s8, v20
	v_fma_f16 v47, v51, s6, -v47
	v_fma_f16 v20, v51, s9, -v20
	v_mul_f16_e32 v22, 0x3a52, v22
	v_mul_f16_e32 v51, 0x2b26, v42
	v_fma_f16 v42, v42, s8, v22
	v_fma_f16 v51, v52, s6, -v51
	v_fma_f16 v22, v52, s9, -v22
	v_mul_f16_e32 v48, 0x3846, v48
	v_mul_f16_e32 v52, 0xbb00, v18
	v_fma_f16 v18, v18, s7, -v48
	v_fma_f16 v48, v45, s14, v48
	v_fma_f16 v45, v45, s16, -v52
	v_mul_f16_e32 v52, 0x3846, v55
	v_mul_f16_e32 v55, 0xbb00, v24
	v_fma_f16 v24, v24, s7, -v52
	v_fma_f16 v52, v46, s14, v52
	v_fma_f16 v46, v46, s16, -v55
	v_add_f16_e32 v55, v41, v14
	v_fma_f16 v41, v41, s17, v55
	v_add_f16_sdwa v14, v44, v14 dst_sel:DWORD dst_unused:UNUSED_PAD src0_sel:DWORD src1_sel:WORD_1
	v_add_f16_e32 v26, v26, v41
	v_add_f16_e32 v47, v47, v41
	;; [unrolled: 1-line block ×3, first 2 shown]
	v_fma_f16 v41, v44, s17, v14
	v_add_f16_e32 v42, v42, v41
	v_add_f16_e32 v44, v51, v41
	;; [unrolled: 1-line block ×3, first 2 shown]
	v_fma_f16 v41, v16, s15, v48
	v_fma_f16 v48, v23, s15, v52
	;; [unrolled: 1-line block ×6, first 2 shown]
	v_add_f16_e32 v45, v48, v26
	v_sub_f16_e32 v46, v47, v24
	v_add_f16_e32 v24, v24, v47
	v_add_f16_e32 v47, v18, v44
	v_sub_f16_e32 v18, v44, v18
	v_add_f16_e32 v44, v23, v20
	v_sub_f16_e32 v20, v20, v23
	v_sub_f16_e32 v23, v22, v16
	v_add_f16_e32 v16, v16, v22
	v_sub_f16_e32 v22, v42, v41
	v_sub_f16_e32 v26, v26, v48
	v_add_f16_e32 v41, v41, v42
	v_add_f16_e32 v42, v53, v43
	;; [unrolled: 1-line block ×3, first 2 shown]
	v_sub_f16_e32 v17, v39, v17
	v_add_f16_e32 v39, v54, v21
	v_add_f16_e32 v51, v25, v19
	v_sub_f16_e32 v19, v25, v19
	v_add_f16_e32 v25, v56, v58
	v_sub_f16_e32 v21, v54, v21
	;; [unrolled: 2-line block ×4, first 2 shown]
	v_sub_f16_e32 v42, v42, v25
	v_sub_f16_e32 v39, v25, v39
	;; [unrolled: 1-line block ×4, first 2 shown]
	v_add_f16_e32 v25, v25, v40
	v_add_f16_e32 v40, v51, v48
	v_sub_f16_e32 v56, v51, v48
	v_sub_f16_e32 v48, v48, v52
	;; [unrolled: 1-line block ×3, first 2 shown]
	v_mul_f16_e32 v42, 0x3a52, v42
	v_mul_f16_e32 v59, 0x2b26, v39
	v_add_f16_e32 v40, v52, v40
	v_add_f16_e32 v52, v53, v21
	v_sub_f16_e32 v57, v53, v21
	v_sub_f16_e32 v21, v21, v43
	v_fma_f16 v39, v39, s8, v42
	v_fma_f16 v59, v54, s6, -v59
	v_fma_f16 v42, v54, s9, -v42
	v_mul_f16_e32 v48, 0x3a52, v48
	v_mul_f16_e32 v54, 0x2b26, v51
	v_sub_f16_e32 v53, v43, v53
	v_add_f16_e32 v43, v52, v43
	v_add_f16_e32 v52, v27, v19
	v_sub_f16_e32 v58, v27, v19
	v_sub_f16_e32 v19, v19, v17
	v_fma_f16 v51, v51, s8, v48
	v_fma_f16 v54, v56, s6, -v54
	v_fma_f16 v48, v56, s9, -v48
	v_mul_f16_e32 v56, 0x3846, v57
	v_mul_f16_e32 v57, 0xbb00, v21
	v_sub_f16_e32 v27, v17, v27
	v_add_f16_e32 v17, v52, v17
	v_add_f16_e32 v52, v25, v15
	v_add_f16_sdwa v15, v40, v15 dst_sel:DWORD dst_unused:UNUSED_PAD src0_sel:DWORD src1_sel:WORD_1
	v_fma_f16 v21, v21, s7, -v56
	v_fma_f16 v56, v53, s14, v56
	v_fma_f16 v53, v53, s16, -v57
	v_mul_f16_e32 v57, 0x3846, v58
	v_mul_f16_e32 v58, 0xbb00, v19
	v_fma_f16 v19, v19, s7, -v57
	v_fma_f16 v57, v27, s14, v57
	v_fma_f16 v27, v27, s16, -v58
	v_fma_f16 v25, v25, s17, v52
	v_fma_f16 v40, v40, s17, v15
	v_add_f16_e32 v39, v39, v25
	v_add_f16_e32 v58, v59, v25
	;; [unrolled: 1-line block ×6, first 2 shown]
	v_fma_f16 v48, v43, s15, v56
	v_fma_f16 v54, v17, s15, v57
	;; [unrolled: 1-line block ×6, first 2 shown]
	v_add_f16_e32 v56, v21, v51
	v_sub_f16_e32 v21, v51, v21
	v_add_f16_e32 v51, v17, v25
	v_sub_f16_e32 v17, v25, v17
	v_sub_f16_e32 v25, v40, v43
	v_add_f16_e32 v40, v43, v40
	v_sub_f16_e32 v43, v42, v48
	v_add_f16_e32 v42, v48, v42
	v_mov_b32_e32 v48, 2
	v_lshlrev_b32_sdwa v38, v48, v38 dst_sel:DWORD dst_unused:UNUSED_PAD src0_sel:DWORD src1_sel:BYTE_0
	v_add3_u32 v37, 0, v37, v38
	v_pack_b32_f16 v14, v55, v14
	v_pack_b32_f16 v22, v45, v22
	ds_write2_b32 v37, v14, v22 offset1:48
	v_pack_b32_f16 v14, v44, v23
	v_pack_b32_f16 v22, v46, v47
	ds_write2_b32 v37, v14, v22 offset0:96 offset1:144
	v_pack_b32_f16 v14, v24, v18
	v_pack_b32_f16 v16, v20, v16
	ds_write2_b32 v37, v14, v16 offset0:192 offset1:240
	v_pack_b32_f16 v14, v26, v41
	v_add_f16_e32 v27, v54, v39
	ds_write_b32 v37, v14 offset:1152
	v_mul_u32_u24_e32 v14, 0x540, v49
	v_lshlrev_b32_sdwa v16, v48, v50 dst_sel:DWORD dst_unused:UNUSED_PAD src0_sel:DWORD src1_sel:BYTE_0
	v_sub_f16_e32 v53, v58, v19
	v_add3_u32 v14, 0, v14, v16
	v_pack_b32_f16 v15, v52, v15
	v_pack_b32_f16 v16, v27, v43
	v_add_f16_e32 v19, v19, v58
	ds_write2_b32 v14, v15, v16 offset1:48
	v_pack_b32_f16 v15, v51, v25
	v_pack_b32_f16 v16, v53, v56
	v_sub_f16_e32 v39, v39, v54
	ds_write2_b32 v14, v15, v16 offset0:96 offset1:144
	v_pack_b32_f16 v15, v19, v21
	v_pack_b32_f16 v16, v17, v40
	ds_write2_b32 v14, v15, v16 offset0:192 offset1:240
	v_pack_b32_f16 v15, v39, v42
	ds_write_b32 v14, v15 offset:1152
	s_and_saveexec_b64 s[4:5], vcc
	s_cbranch_execz .LBB0_39
; %bb.38:
	s_mov_b32 s18, 0xaaab
	v_mul_u32_u24_sdwa v14, v28, s18 dst_sel:DWORD dst_unused:UNUSED_PAD src0_sel:WORD_0 src1_sel:DWORD
	v_lshrrev_b32_e32 v14, 21, v14
	v_mul_lo_u16_e32 v14, 48, v14
	v_sub_u16_e32 v20, v28, v14
	v_mul_u32_u24_e32 v14, 6, v20
	v_lshlrev_b32_e32 v21, 2, v14
	global_load_dwordx4 v[14:17], v21, s[12:13] offset:184
	global_load_dwordx2 v[18:19], v21, s[12:13] offset:200
	s_waitcnt vmcnt(1)
	v_mul_f16_sdwa v21, v29, v14 dst_sel:DWORD dst_unused:UNUSED_PAD src0_sel:DWORD src1_sel:WORD_1
	s_waitcnt vmcnt(0)
	v_mul_f16_sdwa v22, v35, v19 dst_sel:DWORD dst_unused:UNUSED_PAD src0_sel:DWORD src1_sel:WORD_1
	v_mul_f16_sdwa v25, v31, v15 dst_sel:DWORD dst_unused:UNUSED_PAD src0_sel:DWORD src1_sel:WORD_1
	;; [unrolled: 1-line block ×11, first 2 shown]
	v_fma_f16 v9, v9, v14, v21
	v_fma_f16 v21, v36, v19, v22
	v_fma_f16 v10, v10, v15, v25
	v_fma_f16 v13, v13, v18, v26
	v_fma_f16 v19, v35, v19, -v27
	v_fma_f16 v14, v29, v14, -v37
	;; [unrolled: 1-line block ×4, first 2 shown]
	v_fma_f16 v12, v12, v17, v23
	v_fma_f16 v11, v11, v16, v24
	v_fma_f16 v16, v34, v16, -v38
	v_fma_f16 v17, v32, v17, -v39
	v_sub_f16_e32 v22, v9, v21
	v_sub_f16_e32 v24, v10, v13
	v_add_f16_e32 v25, v14, v19
	v_add_f16_e32 v27, v15, v18
	;; [unrolled: 1-line block ×4, first 2 shown]
	v_sub_f16_e32 v23, v12, v11
	v_add_f16_e32 v26, v16, v17
	v_add_f16_e32 v11, v11, v12
	v_sub_f16_e32 v12, v14, v19
	v_sub_f16_e32 v13, v17, v16
	;; [unrolled: 1-line block ×3, first 2 shown]
	v_add_f16_e32 v21, v27, v25
	v_add_f16_e32 v31, v10, v9
	v_sub_f16_e32 v15, v22, v23
	v_sub_f16_e32 v16, v23, v24
	v_add_f16_e32 v17, v23, v24
	v_sub_f16_e32 v18, v25, v26
	v_sub_f16_e32 v19, v26, v27
	;; [unrolled: 1-line block ×6, first 2 shown]
	v_add_f16_e32 v13, v13, v14
	v_sub_f16_e32 v24, v24, v22
	v_sub_f16_e32 v9, v10, v9
	;; [unrolled: 1-line block ×3, first 2 shown]
	v_add_f16_e32 v21, v26, v21
	v_add_f16_e32 v11, v11, v31
	v_sub_f16_e32 v25, v27, v25
	v_mul_f16_e32 v14, 0x3846, v16
	v_add_f16_e32 v16, v17, v22
	v_mul_f16_e32 v17, 0x3a52, v18
	v_mul_f16_e32 v18, 0x2b26, v19
	;; [unrolled: 1-line block ×5, first 2 shown]
	v_add_f16_e32 v12, v13, v12
	v_mul_f16_e32 v13, 0xbb00, v24
	v_mul_f16_e32 v27, 0xbb00, v10
	v_add_f16_e32 v30, v30, v21
	v_add_f16_e32 v8, v8, v11
	v_fma_f16 v31, v15, s14, v14
	v_fma_f16 v19, v19, s8, v17
	;; [unrolled: 1-line block ×4, first 2 shown]
	v_fma_f16 v13, v15, s16, -v13
	v_fma_f16 v15, v25, s9, -v17
	;; [unrolled: 1-line block ×4, first 2 shown]
	v_fma_f16 v21, v21, s17, v30
	v_fma_f16 v11, v11, s17, v8
	v_fma_f16 v18, v25, s6, -v18
	v_fma_f16 v14, v24, s7, -v14
	;; [unrolled: 1-line block ×4, first 2 shown]
	v_fma_f16 v27, v16, s15, v31
	v_fma_f16 v31, v12, s15, v33
	;; [unrolled: 1-line block ×4, first 2 shown]
	v_add_f16_e32 v19, v19, v21
	v_add_f16_e32 v29, v29, v11
	;; [unrolled: 1-line block ×5, first 2 shown]
	v_fma_f16 v14, v16, s15, v14
	v_fma_f16 v10, v12, s15, v10
	v_add_f16_e32 v9, v9, v11
	v_add_f16_e32 v34, v13, v15
	v_sub_f16_e32 v35, v17, v22
	v_sub_f16_e32 v16, v18, v14
	v_add_f16_e32 v11, v10, v9
	v_add_f16_e32 v12, v14, v18
	v_sub_f16_e32 v9, v9, v10
	v_sub_f16_e32 v10, v15, v13
	v_add_f16_e32 v13, v22, v17
	v_sub_f16_e32 v14, v19, v27
	v_add_f16_e32 v15, v31, v29
	v_lshl_add_u32 v17, v20, 2, 0
	v_pack_b32_f16 v8, v8, v30
	v_pack_b32_f16 v14, v15, v14
	v_add_u32_e32 v15, 0x1400, v17
	ds_write2_b32 v15, v8, v14 offset0:64 offset1:112
	v_pack_b32_f16 v8, v13, v10
	v_pack_b32_f16 v9, v9, v12
	v_add_f16_e32 v32, v27, v19
	v_sub_f16_e32 v33, v29, v31
	ds_write2_b32 v15, v8, v9 offset0:160 offset1:208
	v_pack_b32_f16 v8, v11, v16
	v_pack_b32_f16 v9, v35, v34
	v_add_u32_e32 v10, 0x1800, v17
	ds_write2_b32 v10, v8, v9 offset1:48
	v_pack_b32_f16 v8, v33, v32
	ds_write_b32 v17, v8 offset:6528
.LBB0_39:
	s_or_b64 exec, exec, s[4:5]
	v_mov_b32_e32 v8, 0
	v_lshlrev_b64 v[9:10], 2, v[7:8]
	v_lshlrev_b32_e32 v7, 2, v4
	v_mov_b32_e32 v19, s13
	v_add_co_u32_e32 v9, vcc, s12, v9
	v_lshlrev_b64 v[13:14], 2, v[7:8]
	v_addc_co_u32_e32 v10, vcc, v19, v10, vcc
	v_lshlrev_b32_e32 v7, 2, v28
	v_add_co_u32_e32 v13, vcc, s12, v13
	v_lshlrev_b64 v[17:18], 2, v[7:8]
	v_addc_co_u32_e32 v14, vcc, v19, v14, vcc
	s_waitcnt lgkmcnt(0)
	s_barrier
	global_load_dwordx4 v[9:12], v[9:10], off offset:1336
	v_add_co_u32_e32 v17, vcc, s12, v17
	global_load_dwordx4 v[13:16], v[13:14], off offset:1336
	v_addc_co_u32_e32 v18, vcc, v19, v18, vcc
	global_load_dwordx4 v[17:20], v[17:18], off offset:1336
	ds_read2_b32 v[21:22], v0 offset1:112
	v_add_u32_e32 v4, 0x200, v0
	v_add_u32_e32 v7, 0xa00, v0
	;; [unrolled: 1-line block ×6, first 2 shown]
	ds_read_u16 v39, v0 offset:1794
	ds_read_b32 v40, v0 offset:6272
	ds_read2_b32 v[23:24], v4 offset0:96 offset1:208
	ds_read2_b32 v[25:26], v7 offset0:32 offset1:144
	;; [unrolled: 1-line block ×6, first 2 shown]
	s_waitcnt lgkmcnt(5)
	v_lshrrev_b32_e32 v51, 16, v24
	s_waitcnt lgkmcnt(4)
	v_lshrrev_b32_e32 v52, 16, v25
	;; [unrolled: 2-line block ×5, first 2 shown]
	v_lshrrev_b32_e32 v43, 16, v40
	v_lshrrev_b32_e32 v53, 16, v28
	v_lshrrev_b32_e32 v54, 16, v29
	v_lshrrev_b32_e32 v44, 16, v26
	v_lshrrev_b32_e32 v45, 16, v33
	v_lshrrev_b32_e32 v46, 16, v30
	s_mov_b32 s4, 0xbb9c
	s_movk_i32 s7, 0x3b9c
	s_mov_b32 s5, 0xb8b4
	s_movk_i32 s8, 0x38b4
	s_movk_i32 s6, 0x34f2
	v_lshrrev_b32_e32 v41, 16, v21
	v_lshrrev_b32_e32 v42, 16, v22
	;; [unrolled: 1-line block ×3, first 2 shown]
	s_waitcnt vmcnt(0)
	s_barrier
	v_mul_f16_sdwa v55, v9, v51 dst_sel:DWORD dst_unused:UNUSED_PAD src0_sel:WORD_1 src1_sel:DWORD
	v_mul_f16_sdwa v56, v9, v24 dst_sel:DWORD dst_unused:UNUSED_PAD src0_sel:WORD_1 src1_sel:DWORD
	;; [unrolled: 1-line block ×4, first 2 shown]
	v_fma_f16 v24, v9, v24, v55
	v_fma_f16 v9, v9, v51, -v56
	v_fma_f16 v25, v10, v25, v57
	v_fma_f16 v10, v10, v52, -v58
	v_mul_f16_sdwa v51, v39, v13 dst_sel:DWORD dst_unused:UNUSED_PAD src0_sel:DWORD src1_sel:WORD_1
	v_mul_f16_sdwa v52, v13, v31 dst_sel:DWORD dst_unused:UNUSED_PAD src0_sel:WORD_1 src1_sel:DWORD
	v_fma_f16 v31, v13, v31, v51
	v_fma_f16 v13, v39, v13, -v52
	v_mul_f16_sdwa v39, v48, v17 dst_sel:DWORD dst_unused:UNUSED_PAD src0_sel:DWORD src1_sel:WORD_1
	v_fma_f16 v39, v32, v17, v39
	v_mul_f16_sdwa v32, v32, v17 dst_sel:DWORD dst_unused:UNUSED_PAD src0_sel:DWORD src1_sel:WORD_1
	v_fma_f16 v17, v48, v17, -v32
	v_mul_f16_sdwa v32, v49, v18 dst_sel:DWORD dst_unused:UNUSED_PAD src0_sel:DWORD src1_sel:WORD_1
	v_fma_f16 v32, v27, v18, v32
	v_mul_f16_sdwa v27, v27, v18 dst_sel:DWORD dst_unused:UNUSED_PAD src0_sel:DWORD src1_sel:WORD_1
	;; [unrolled: 4-line block ×3, first 2 shown]
	v_mul_f16_sdwa v59, v11, v53 dst_sel:DWORD dst_unused:UNUSED_PAD src0_sel:WORD_1 src1_sel:DWORD
	v_fma_f16 v19, v50, v19, -v34
	v_mul_f16_sdwa v34, v43, v20 dst_sel:DWORD dst_unused:UNUSED_PAD src0_sel:DWORD src1_sel:WORD_1
	v_mul_f16_sdwa v60, v11, v28 dst_sel:DWORD dst_unused:UNUSED_PAD src0_sel:WORD_1 src1_sel:DWORD
	v_mul_f16_sdwa v61, v12, v54 dst_sel:DWORD dst_unused:UNUSED_PAD src0_sel:WORD_1 src1_sel:DWORD
	;; [unrolled: 1-line block ×3, first 2 shown]
	v_fma_f16 v28, v11, v28, v59
	v_fma_f16 v34, v40, v20, v34
	v_mul_f16_sdwa v40, v40, v20 dst_sel:DWORD dst_unused:UNUSED_PAD src0_sel:DWORD src1_sel:WORD_1
	v_fma_f16 v11, v11, v53, -v60
	v_fma_f16 v29, v12, v29, v61
	v_fma_f16 v12, v12, v54, -v62
	v_mul_f16_sdwa v53, v44, v14 dst_sel:DWORD dst_unused:UNUSED_PAD src0_sel:DWORD src1_sel:WORD_1
	v_mul_f16_sdwa v54, v26, v14 dst_sel:DWORD dst_unused:UNUSED_PAD src0_sel:DWORD src1_sel:WORD_1
	v_fma_f16 v20, v43, v20, -v40
	v_add_f16_e32 v43, v25, v28
	v_mul_f16_sdwa v55, v45, v15 dst_sel:DWORD dst_unused:UNUSED_PAD src0_sel:DWORD src1_sel:WORD_1
	v_mul_f16_sdwa v56, v33, v15 dst_sel:DWORD dst_unused:UNUSED_PAD src0_sel:DWORD src1_sel:WORD_1
	;; [unrolled: 1-line block ×4, first 2 shown]
	v_fma_f16 v26, v26, v14, v53
	v_fma_f16 v14, v44, v14, -v54
	v_fma_f16 v43, v43, -0.5, v21
	v_sub_f16_e32 v44, v9, v12
	v_fma_f16 v33, v33, v15, v55
	v_fma_f16 v15, v45, v15, -v56
	v_fma_f16 v30, v30, v16, v57
	v_fma_f16 v16, v46, v16, -v58
	v_fma_f16 v45, v44, s4, v43
	v_sub_f16_e32 v46, v10, v11
	v_sub_f16_e32 v48, v24, v25
	v_sub_f16_e32 v49, v29, v28
	v_fma_f16 v43, v44, s7, v43
	v_fma_f16 v45, v46, s5, v45
	v_add_f16_e32 v48, v48, v49
	v_fma_f16 v43, v46, s8, v43
	v_fma_f16 v45, v48, s6, v45
	;; [unrolled: 1-line block ×3, first 2 shown]
	v_add_f16_e32 v48, v24, v29
	v_add_f16_e32 v40, v21, v24
	v_fma_f16 v21, v48, -0.5, v21
	v_add_f16_e32 v40, v40, v25
	v_fma_f16 v48, v46, s7, v21
	v_fma_f16 v21, v46, s4, v21
	v_add_f16_e32 v46, v10, v11
	v_add_f16_e32 v40, v40, v28
	v_sub_f16_e32 v49, v25, v24
	v_sub_f16_e32 v50, v28, v29
	v_fma_f16 v46, v46, -0.5, v41
	v_sub_f16_e32 v24, v24, v29
	v_add_f16_e32 v40, v40, v29
	v_fma_f16 v48, v44, s5, v48
	v_add_f16_e32 v49, v49, v50
	v_fma_f16 v21, v44, s8, v21
	v_fma_f16 v29, v24, s7, v46
	v_sub_f16_e32 v25, v25, v28
	v_fma_f16 v48, v49, s6, v48
	v_fma_f16 v21, v49, s6, v21
	;; [unrolled: 1-line block ×3, first 2 shown]
	v_sub_f16_e32 v29, v9, v10
	v_sub_f16_e32 v49, v12, v11
	v_fma_f16 v46, v24, s4, v46
	v_add_f16_e32 v44, v41, v9
	v_add_f16_e32 v29, v29, v49
	v_fma_f16 v46, v25, s5, v46
	v_add_f16_e32 v44, v44, v10
	v_fma_f16 v28, v29, s6, v28
	v_fma_f16 v29, v29, s6, v46
	v_add_f16_e32 v46, v9, v12
	v_add_f16_e32 v44, v44, v11
	v_fma_f16 v41, v46, -0.5, v41
	v_add_f16_e32 v44, v44, v12
	v_fma_f16 v46, v25, s4, v41
	v_sub_f16_e32 v9, v10, v9
	v_sub_f16_e32 v10, v11, v12
	v_fma_f16 v11, v25, s7, v41
	v_add_f16_e32 v12, v26, v33
	v_fma_f16 v46, v24, s8, v46
	v_add_f16_e32 v9, v9, v10
	v_fma_f16 v11, v24, s5, v11
	v_fma_f16 v12, v12, -0.5, v22
	v_sub_f16_e32 v24, v13, v16
	v_fma_f16 v10, v9, s6, v46
	v_fma_f16 v25, v24, s4, v12
	v_sub_f16_e32 v41, v14, v15
	v_sub_f16_e32 v46, v31, v26
	;; [unrolled: 1-line block ×3, first 2 shown]
	v_fma_f16 v12, v24, s7, v12
	v_fma_f16 v25, v41, s5, v25
	v_add_f16_e32 v46, v46, v49
	v_fma_f16 v12, v41, s8, v12
	v_fma_f16 v9, v9, s6, v11
	v_add_f16_e32 v11, v22, v31
	;; [unrolled: 3-line block ×3, first 2 shown]
	v_add_f16_e32 v11, v11, v26
	v_fma_f16 v22, v46, -0.5, v22
	v_add_f16_e32 v11, v11, v33
	v_fma_f16 v46, v41, s7, v22
	v_sub_f16_e32 v49, v26, v31
	v_sub_f16_e32 v50, v33, v30
	v_fma_f16 v22, v41, s4, v22
	v_add_f16_e32 v41, v14, v15
	v_add_f16_e32 v11, v11, v30
	v_fma_f16 v46, v24, s5, v46
	v_add_f16_e32 v49, v49, v50
	v_fma_f16 v22, v24, s8, v22
	v_fma_f16 v41, v41, -0.5, v42
	v_sub_f16_e32 v30, v31, v30
	v_fma_f16 v46, v49, s6, v46
	v_fma_f16 v22, v49, s6, v22
	v_fma_f16 v31, v30, s7, v41
	v_sub_f16_e32 v26, v26, v33
	v_sub_f16_e32 v33, v13, v14
	;; [unrolled: 1-line block ×3, first 2 shown]
	v_fma_f16 v41, v30, s4, v41
	v_add_f16_e32 v24, v42, v13
	v_fma_f16 v31, v26, s8, v31
	v_add_f16_e32 v33, v33, v49
	;; [unrolled: 2-line block ×3, first 2 shown]
	v_fma_f16 v31, v33, s6, v31
	v_fma_f16 v33, v33, s6, v41
	v_add_f16_e32 v41, v13, v16
	v_add_f16_e32 v24, v24, v15
	v_fma_f16 v41, v41, -0.5, v42
	v_add_f16_e32 v24, v24, v16
	v_fma_f16 v42, v26, s4, v41
	v_sub_f16_e32 v13, v14, v13
	v_sub_f16_e32 v14, v15, v16
	v_add_f16_e32 v16, v32, v27
	v_fma_f16 v42, v30, s8, v42
	v_add_f16_e32 v13, v13, v14
	v_fma_f16 v15, v26, s7, v41
	v_fma_f16 v16, v16, -0.5, v23
	v_sub_f16_e32 v26, v17, v20
	v_fma_f16 v14, v13, s6, v42
	v_fma_f16 v15, v30, s5, v15
	;; [unrolled: 1-line block ×3, first 2 shown]
	v_sub_f16_e32 v41, v18, v19
	v_sub_f16_e32 v42, v39, v32
	;; [unrolled: 1-line block ×3, first 2 shown]
	v_fma_f16 v16, v26, s7, v16
	v_fma_f16 v30, v41, s5, v30
	v_add_f16_e32 v42, v42, v49
	v_fma_f16 v16, v41, s8, v16
	v_fma_f16 v13, v13, s6, v15
	v_add_f16_e32 v15, v23, v39
	;; [unrolled: 3-line block ×3, first 2 shown]
	v_add_f16_e32 v15, v15, v32
	v_fma_f16 v23, v42, -0.5, v23
	v_add_f16_e32 v15, v15, v27
	v_fma_f16 v42, v41, s7, v23
	v_fma_f16 v23, v41, s4, v23
	v_add_f16_e32 v41, v18, v19
	v_add_f16_e32 v15, v15, v34
	v_sub_f16_e32 v49, v32, v39
	v_sub_f16_e32 v50, v27, v34
	v_fma_f16 v41, v41, -0.5, v47
	v_sub_f16_e32 v34, v39, v34
	v_fma_f16 v42, v26, s5, v42
	v_add_f16_e32 v49, v49, v50
	v_fma_f16 v23, v26, s8, v23
	v_fma_f16 v39, v34, s7, v41
	v_sub_f16_e32 v27, v32, v27
	v_fma_f16 v42, v49, s6, v42
	v_fma_f16 v23, v49, s6, v23
	v_fma_f16 v32, v27, s8, v39
	v_sub_f16_e32 v39, v17, v18
	v_sub_f16_e32 v49, v20, v19
	v_fma_f16 v41, v34, s4, v41
	v_add_f16_e32 v39, v39, v49
	v_fma_f16 v41, v27, s5, v41
	v_add_f16_e32 v26, v47, v17
	v_fma_f16 v32, v39, s6, v32
	v_fma_f16 v39, v39, s6, v41
	v_add_f16_e32 v41, v17, v20
	v_add_f16_e32 v26, v26, v18
	v_fma_f16 v41, v41, -0.5, v47
	v_add_f16_e32 v26, v26, v19
	v_fma_f16 v47, v27, s4, v41
	v_sub_f16_e32 v17, v18, v17
	v_sub_f16_e32 v18, v19, v20
	v_fma_f16 v19, v27, s7, v41
	v_pack_b32_f16 v10, v48, v10
	v_pack_b32_f16 v14, v46, v14
	v_add_f16_e32 v26, v26, v20
	v_fma_f16 v47, v34, s8, v47
	v_add_f16_e32 v17, v17, v18
	v_fma_f16 v19, v34, s5, v19
	v_pack_b32_f16 v9, v21, v9
	v_pack_b32_f16 v21, v43, v29
	ds_write2_b32 v7, v10, v14 offset0:32 offset1:144
	v_pack_b32_f16 v10, v12, v33
	v_fma_f16 v18, v17, s6, v47
	v_fma_f16 v17, v17, s6, v19
	v_pack_b32_f16 v19, v40, v44
	v_pack_b32_f16 v20, v45, v28
	;; [unrolled: 1-line block ×3, first 2 shown]
	ds_write2_b32 v36, v21, v10 offset0:64 offset1:176
	v_pack_b32_f16 v10, v15, v26
	ds_write2_b32 v0, v19, v11 offset1:112
	v_pack_b32_f16 v11, v25, v31
	ds_write2_b32 v4, v10, v20 offset0:96 offset1:208
	v_pack_b32_f16 v4, v30, v32
	ds_write2_b32 v37, v11, v4 offset0:64 offset1:176
	v_pack_b32_f16 v4, v42, v18
	v_pack_b32_f16 v7, v22, v13
	ds_write2_b32 v35, v4, v9 offset0:128 offset1:240
	v_pack_b32_f16 v4, v23, v17
	ds_write2_b32 v38, v7, v4 offset0:96 offset1:208
	v_pack_b32_f16 v4, v16, v39
	ds_write_b32 v0, v4 offset:6272
	s_waitcnt lgkmcnt(0)
	s_barrier
	s_and_saveexec_b64 s[4:5], s[0:1]
	s_cbranch_execz .LBB0_41
; %bb.40:
	v_mul_lo_u32 v0, s3, v5
	v_mul_lo_u32 v4, s2, v6
	v_mad_u64_u32 v[5:6], s[0:1], s2, v5, 0
	v_lshl_add_u32 v11, v3, 2, 0
	ds_read2_b32 v[9:10], v11 offset1:112
	v_add3_u32 v6, v6, v4, v0
	v_lshlrev_b64 v[5:6], 2, v[5:6]
	v_mov_b32_e32 v0, s11
	v_add_co_u32_e32 v5, vcc, s10, v5
	v_addc_co_u32_e32 v6, vcc, v0, v6, vcc
	v_lshlrev_b64 v[0:1], 2, v[1:2]
	v_mov_b32_e32 v4, v8
	v_add_co_u32_e32 v2, vcc, v5, v0
	v_addc_co_u32_e32 v6, vcc, v6, v1, vcc
	v_lshlrev_b64 v[0:1], 2, v[3:4]
	v_add_u32_e32 v7, 0x70, v3
	v_add_co_u32_e32 v0, vcc, v2, v0
	v_addc_co_u32_e32 v1, vcc, v6, v1, vcc
	s_waitcnt lgkmcnt(0)
	global_store_dword v[0:1], v9, off
	v_lshlrev_b64 v[0:1], 2, v[7:8]
	v_add_u32_e32 v7, 0xe0, v3
	v_add_co_u32_e32 v0, vcc, v2, v0
	v_addc_co_u32_e32 v1, vcc, v6, v1, vcc
	global_store_dword v[0:1], v10, off
	v_add_u32_e32 v0, 0x200, v11
	ds_read2_b32 v[0:1], v0 offset0:96 offset1:208
	v_lshlrev_b64 v[4:5], 2, v[7:8]
	v_add_u32_e32 v7, 0x150, v3
	v_add_co_u32_e32 v4, vcc, v2, v4
	v_addc_co_u32_e32 v5, vcc, v6, v5, vcc
	s_waitcnt lgkmcnt(0)
	global_store_dword v[4:5], v0, off
	v_lshlrev_b64 v[4:5], 2, v[7:8]
	v_add_u32_e32 v0, 0x600, v11
	v_add_co_u32_e32 v4, vcc, v2, v4
	v_addc_co_u32_e32 v5, vcc, v6, v5, vcc
	global_store_dword v[4:5], v1, off
	v_add_u32_e32 v7, 0x1c0, v3
	ds_read2_b32 v[0:1], v0 offset0:64 offset1:176
	;; [unrolled: 13-line block ×6, first 2 shown]
	v_lshlrev_b64 v[4:5], 2, v[7:8]
	v_add_u32_e32 v7, 0x5b0, v3
	v_add_co_u32_e32 v4, vcc, v2, v4
	v_addc_co_u32_e32 v5, vcc, v6, v5, vcc
	s_waitcnt lgkmcnt(0)
	global_store_dword v[4:5], v0, off
	v_lshlrev_b64 v[4:5], 2, v[7:8]
	v_add_u32_e32 v7, 0x620, v3
	v_add_co_u32_e32 v4, vcc, v2, v4
	v_addc_co_u32_e32 v5, vcc, v6, v5, vcc
	ds_read_b32 v3, v11 offset:6272
	global_store_dword v[4:5], v1, off
	v_lshlrev_b64 v[0:1], 2, v[7:8]
	v_add_co_u32_e32 v0, vcc, v2, v0
	v_addc_co_u32_e32 v1, vcc, v6, v1, vcc
	s_waitcnt lgkmcnt(0)
	global_store_dword v[0:1], v3, off
.LBB0_41:
	s_endpgm
	.section	.rodata,"a",@progbits
	.p2align	6, 0x0
	.amdhsa_kernel fft_rtc_back_len1680_factors_2_2_2_2_3_7_5_wgs_112_tpt_112_halfLds_half_op_CI_CI_unitstride_sbrr_C2R_dirReg
		.amdhsa_group_segment_fixed_size 0
		.amdhsa_private_segment_fixed_size 0
		.amdhsa_kernarg_size 104
		.amdhsa_user_sgpr_count 6
		.amdhsa_user_sgpr_private_segment_buffer 1
		.amdhsa_user_sgpr_dispatch_ptr 0
		.amdhsa_user_sgpr_queue_ptr 0
		.amdhsa_user_sgpr_kernarg_segment_ptr 1
		.amdhsa_user_sgpr_dispatch_id 0
		.amdhsa_user_sgpr_flat_scratch_init 0
		.amdhsa_user_sgpr_private_segment_size 0
		.amdhsa_uses_dynamic_stack 0
		.amdhsa_system_sgpr_private_segment_wavefront_offset 0
		.amdhsa_system_sgpr_workgroup_id_x 1
		.amdhsa_system_sgpr_workgroup_id_y 0
		.amdhsa_system_sgpr_workgroup_id_z 0
		.amdhsa_system_sgpr_workgroup_info 0
		.amdhsa_system_vgpr_workitem_id 0
		.amdhsa_next_free_vgpr 63
		.amdhsa_next_free_sgpr 28
		.amdhsa_reserve_vcc 1
		.amdhsa_reserve_flat_scratch 0
		.amdhsa_float_round_mode_32 0
		.amdhsa_float_round_mode_16_64 0
		.amdhsa_float_denorm_mode_32 3
		.amdhsa_float_denorm_mode_16_64 3
		.amdhsa_dx10_clamp 1
		.amdhsa_ieee_mode 1
		.amdhsa_fp16_overflow 0
		.amdhsa_exception_fp_ieee_invalid_op 0
		.amdhsa_exception_fp_denorm_src 0
		.amdhsa_exception_fp_ieee_div_zero 0
		.amdhsa_exception_fp_ieee_overflow 0
		.amdhsa_exception_fp_ieee_underflow 0
		.amdhsa_exception_fp_ieee_inexact 0
		.amdhsa_exception_int_div_zero 0
	.end_amdhsa_kernel
	.text
.Lfunc_end0:
	.size	fft_rtc_back_len1680_factors_2_2_2_2_3_7_5_wgs_112_tpt_112_halfLds_half_op_CI_CI_unitstride_sbrr_C2R_dirReg, .Lfunc_end0-fft_rtc_back_len1680_factors_2_2_2_2_3_7_5_wgs_112_tpt_112_halfLds_half_op_CI_CI_unitstride_sbrr_C2R_dirReg
                                        ; -- End function
	.section	.AMDGPU.csdata,"",@progbits
; Kernel info:
; codeLenInByte = 12692
; NumSgprs: 32
; NumVgprs: 63
; ScratchSize: 0
; MemoryBound: 0
; FloatMode: 240
; IeeeMode: 1
; LDSByteSize: 0 bytes/workgroup (compile time only)
; SGPRBlocks: 3
; VGPRBlocks: 15
; NumSGPRsForWavesPerEU: 32
; NumVGPRsForWavesPerEU: 63
; Occupancy: 4
; WaveLimiterHint : 1
; COMPUTE_PGM_RSRC2:SCRATCH_EN: 0
; COMPUTE_PGM_RSRC2:USER_SGPR: 6
; COMPUTE_PGM_RSRC2:TRAP_HANDLER: 0
; COMPUTE_PGM_RSRC2:TGID_X_EN: 1
; COMPUTE_PGM_RSRC2:TGID_Y_EN: 0
; COMPUTE_PGM_RSRC2:TGID_Z_EN: 0
; COMPUTE_PGM_RSRC2:TIDIG_COMP_CNT: 0
	.type	__hip_cuid_669ebe576d613163,@object ; @__hip_cuid_669ebe576d613163
	.section	.bss,"aw",@nobits
	.globl	__hip_cuid_669ebe576d613163
__hip_cuid_669ebe576d613163:
	.byte	0                               ; 0x0
	.size	__hip_cuid_669ebe576d613163, 1

	.ident	"AMD clang version 19.0.0git (https://github.com/RadeonOpenCompute/llvm-project roc-6.4.0 25133 c7fe45cf4b819c5991fe208aaa96edf142730f1d)"
	.section	".note.GNU-stack","",@progbits
	.addrsig
	.addrsig_sym __hip_cuid_669ebe576d613163
	.amdgpu_metadata
---
amdhsa.kernels:
  - .args:
      - .actual_access:  read_only
        .address_space:  global
        .offset:         0
        .size:           8
        .value_kind:     global_buffer
      - .offset:         8
        .size:           8
        .value_kind:     by_value
      - .actual_access:  read_only
        .address_space:  global
        .offset:         16
        .size:           8
        .value_kind:     global_buffer
      - .actual_access:  read_only
        .address_space:  global
        .offset:         24
        .size:           8
        .value_kind:     global_buffer
      - .actual_access:  read_only
        .address_space:  global
        .offset:         32
        .size:           8
        .value_kind:     global_buffer
      - .offset:         40
        .size:           8
        .value_kind:     by_value
      - .actual_access:  read_only
        .address_space:  global
        .offset:         48
        .size:           8
        .value_kind:     global_buffer
      - .actual_access:  read_only
        .address_space:  global
        .offset:         56
        .size:           8
        .value_kind:     global_buffer
      - .offset:         64
        .size:           4
        .value_kind:     by_value
      - .actual_access:  read_only
        .address_space:  global
        .offset:         72
        .size:           8
        .value_kind:     global_buffer
      - .actual_access:  read_only
        .address_space:  global
        .offset:         80
        .size:           8
        .value_kind:     global_buffer
      - .actual_access:  read_only
        .address_space:  global
        .offset:         88
        .size:           8
        .value_kind:     global_buffer
      - .actual_access:  write_only
        .address_space:  global
        .offset:         96
        .size:           8
        .value_kind:     global_buffer
    .group_segment_fixed_size: 0
    .kernarg_segment_align: 8
    .kernarg_segment_size: 104
    .language:       OpenCL C
    .language_version:
      - 2
      - 0
    .max_flat_workgroup_size: 112
    .name:           fft_rtc_back_len1680_factors_2_2_2_2_3_7_5_wgs_112_tpt_112_halfLds_half_op_CI_CI_unitstride_sbrr_C2R_dirReg
    .private_segment_fixed_size: 0
    .sgpr_count:     32
    .sgpr_spill_count: 0
    .symbol:         fft_rtc_back_len1680_factors_2_2_2_2_3_7_5_wgs_112_tpt_112_halfLds_half_op_CI_CI_unitstride_sbrr_C2R_dirReg.kd
    .uniform_work_group_size: 1
    .uses_dynamic_stack: false
    .vgpr_count:     63
    .vgpr_spill_count: 0
    .wavefront_size: 64
amdhsa.target:   amdgcn-amd-amdhsa--gfx906
amdhsa.version:
  - 1
  - 2
...

	.end_amdgpu_metadata
